;; amdgpu-corpus repo=pytorch/pytorch kind=compiled arch=gfx90a opt=O3
	.text
	.amdgcn_target "amdgcn-amd-amdhsa--gfx90a"
	.amdhsa_code_object_version 6
	.section	.text._ZN2at6native12_GLOBAL__N_143distribution_elementwise_grid_stride_kernelIdLi2EZNS0_9templates4cuda20normal_and_transformIddPNS_17CUDAGeneratorImplEZZZNS4_13normal_kernelIS7_EEvRKNS_10TensorBaseEddT_ENKUlvE_clEvENKUlvE_clEvEUldE_EEvRNS_18TensorIteratorBaseET1_T2_EUlP25hiprandStatePhilox4_32_10E_ZNS1_27distribution_nullary_kernelIdd15HIP_vector_typeIdLj2EES7_SM_SF_EEvSH_SJ_RKT3_T4_EUlidE_EEvlNS_15PhiloxCudaStateESI_SJ_,"axG",@progbits,_ZN2at6native12_GLOBAL__N_143distribution_elementwise_grid_stride_kernelIdLi2EZNS0_9templates4cuda20normal_and_transformIddPNS_17CUDAGeneratorImplEZZZNS4_13normal_kernelIS7_EEvRKNS_10TensorBaseEddT_ENKUlvE_clEvENKUlvE_clEvEUldE_EEvRNS_18TensorIteratorBaseET1_T2_EUlP25hiprandStatePhilox4_32_10E_ZNS1_27distribution_nullary_kernelIdd15HIP_vector_typeIdLj2EES7_SM_SF_EEvSH_SJ_RKT3_T4_EUlidE_EEvlNS_15PhiloxCudaStateESI_SJ_,comdat
	.globl	_ZN2at6native12_GLOBAL__N_143distribution_elementwise_grid_stride_kernelIdLi2EZNS0_9templates4cuda20normal_and_transformIddPNS_17CUDAGeneratorImplEZZZNS4_13normal_kernelIS7_EEvRKNS_10TensorBaseEddT_ENKUlvE_clEvENKUlvE_clEvEUldE_EEvRNS_18TensorIteratorBaseET1_T2_EUlP25hiprandStatePhilox4_32_10E_ZNS1_27distribution_nullary_kernelIdd15HIP_vector_typeIdLj2EES7_SM_SF_EEvSH_SJ_RKT3_T4_EUlidE_EEvlNS_15PhiloxCudaStateESI_SJ_ ; -- Begin function _ZN2at6native12_GLOBAL__N_143distribution_elementwise_grid_stride_kernelIdLi2EZNS0_9templates4cuda20normal_and_transformIddPNS_17CUDAGeneratorImplEZZZNS4_13normal_kernelIS7_EEvRKNS_10TensorBaseEddT_ENKUlvE_clEvENKUlvE_clEvEUldE_EEvRNS_18TensorIteratorBaseET1_T2_EUlP25hiprandStatePhilox4_32_10E_ZNS1_27distribution_nullary_kernelIdd15HIP_vector_typeIdLj2EES7_SM_SF_EEvSH_SJ_RKT3_T4_EUlidE_EEvlNS_15PhiloxCudaStateESI_SJ_
	.p2align	8
	.type	_ZN2at6native12_GLOBAL__N_143distribution_elementwise_grid_stride_kernelIdLi2EZNS0_9templates4cuda20normal_and_transformIddPNS_17CUDAGeneratorImplEZZZNS4_13normal_kernelIS7_EEvRKNS_10TensorBaseEddT_ENKUlvE_clEvENKUlvE_clEvEUldE_EEvRNS_18TensorIteratorBaseET1_T2_EUlP25hiprandStatePhilox4_32_10E_ZNS1_27distribution_nullary_kernelIdd15HIP_vector_typeIdLj2EES7_SM_SF_EEvSH_SJ_RKT3_T4_EUlidE_EEvlNS_15PhiloxCudaStateESI_SJ_,@function
_ZN2at6native12_GLOBAL__N_143distribution_elementwise_grid_stride_kernelIdLi2EZNS0_9templates4cuda20normal_and_transformIddPNS_17CUDAGeneratorImplEZZZNS4_13normal_kernelIS7_EEvRKNS_10TensorBaseEddT_ENKUlvE_clEvENKUlvE_clEvEUldE_EEvRNS_18TensorIteratorBaseET1_T2_EUlP25hiprandStatePhilox4_32_10E_ZNS1_27distribution_nullary_kernelIdd15HIP_vector_typeIdLj2EES7_SM_SF_EEvSH_SJ_RKT3_T4_EUlidE_EEvlNS_15PhiloxCudaStateESI_SJ_: ; @_ZN2at6native12_GLOBAL__N_143distribution_elementwise_grid_stride_kernelIdLi2EZNS0_9templates4cuda20normal_and_transformIddPNS_17CUDAGeneratorImplEZZZNS4_13normal_kernelIS7_EEvRKNS_10TensorBaseEddT_ENKUlvE_clEvENKUlvE_clEvEUldE_EEvRNS_18TensorIteratorBaseET1_T2_EUlP25hiprandStatePhilox4_32_10E_ZNS1_27distribution_nullary_kernelIdd15HIP_vector_typeIdLj2EES7_SM_SF_EEvSH_SJ_RKT3_T4_EUlidE_EEvlNS_15PhiloxCudaStateESI_SJ_
; %bb.0:
	s_load_dword s2, s[4:5], 0x20
	s_load_dwordx2 s[0:1], s[4:5], 0x10
	s_load_dwordx4 s[8:11], s[4:5], 0x0
	s_waitcnt lgkmcnt(0)
	s_bitcmp0_b32 s2, 0
	s_mov_b32 s2, 0
	v_pk_mov_b32 v[2:3], s[0:1], s[0:1] op_sel:[0,1]
	v_pk_mov_b32 v[12:13], s[10:11], s[10:11] op_sel:[0,1]
	s_cbranch_scc1 .LBB0_2
; %bb.1:
	v_pk_mov_b32 v[2:3], s[0:1], s[0:1] op_sel:[0,1]
	flat_load_dwordx2 v[2:3], v[2:3]
	v_pk_mov_b32 v[4:5], s[10:11], s[10:11] op_sel:[0,1]
	flat_load_dwordx2 v[12:13], v[4:5]
	s_load_dwordx2 s[0:1], s[4:5], 0x18
	s_waitcnt lgkmcnt(0)
	v_mov_b32_e32 v1, s1
	s_waitcnt vmcnt(0)
	v_add_co_u32_e32 v2, vcc, s0, v2
	v_addc_co_u32_e32 v3, vcc, v3, v1, vcc
.LBB0_2:
	s_load_dword s0, s[4:5], 0x5c
	s_load_dword s18, s[4:5], 0x50
	s_waitcnt lgkmcnt(0)
	s_and_b32 s7, s0, 0xffff
	s_add_u32 s10, s8, -1
	s_mul_i32 s33, s18, s7
	s_addc_u32 s3, s9, -1
	s_lshl_b32 s38, s33, 1
	s_cmp_lg_u64 s[2:3], 0
	s_mov_b64 s[0:1], -1
	s_cbranch_scc0 .LBB0_23
; %bb.3:
	v_cvt_f32_u32_e32 v1, s38
	v_cvt_f32_ubyte0_e32 v4, 0
	s_sub_u32 s2, 0, s38
	s_subb_u32 s11, 0, 0
	v_madmk_f32 v1, v4, 0x4f800000, v1
	v_rcp_f32_e32 v1, v1
	v_mul_f32_e32 v1, 0x5f7ffffc, v1
	v_mul_f32_e32 v4, 0x2f800000, v1
	v_trunc_f32_e32 v4, v4
	v_madmk_f32 v1, v4, 0xcf800000, v1
	v_cvt_u32_f32_e32 v4, v4
	v_cvt_u32_f32_e32 v1, v1
	v_readfirstlane_b32 s12, v4
	v_readfirstlane_b32 s13, v1
	s_mul_i32 s14, s2, s12
	s_mul_hi_u32 s16, s2, s13
	s_mul_i32 s15, s11, s13
	s_add_i32 s14, s16, s14
	s_add_i32 s14, s14, s15
	s_mul_i32 s17, s2, s13
	s_mul_hi_u32 s15, s13, s14
	s_mul_i32 s16, s13, s14
	s_mul_hi_u32 s13, s13, s17
	s_add_u32 s13, s13, s16
	s_addc_u32 s15, 0, s15
	s_mul_hi_u32 s19, s12, s17
	s_mul_i32 s17, s12, s17
	s_add_u32 s13, s13, s17
	s_mul_hi_u32 s16, s12, s14
	s_addc_u32 s13, s15, s19
	s_addc_u32 s15, s16, 0
	s_mul_i32 s14, s12, s14
	s_add_u32 s13, s13, s14
	s_addc_u32 s14, 0, s15
	v_add_co_u32_e32 v1, vcc, s13, v1
	s_cmp_lg_u64 vcc, 0
	s_addc_u32 s12, s12, s14
	v_readfirstlane_b32 s14, v1
	s_mul_i32 s13, s2, s12
	s_mul_hi_u32 s15, s2, s14
	s_add_i32 s13, s15, s13
	s_mul_i32 s11, s11, s14
	s_add_i32 s13, s13, s11
	s_mul_i32 s2, s2, s14
	s_mul_hi_u32 s15, s12, s2
	s_mul_i32 s16, s12, s2
	s_mul_i32 s19, s14, s13
	s_mul_hi_u32 s2, s14, s2
	s_mul_hi_u32 s17, s14, s13
	s_add_u32 s2, s2, s19
	s_addc_u32 s14, 0, s17
	s_add_u32 s2, s2, s16
	s_mul_hi_u32 s11, s12, s13
	s_addc_u32 s2, s14, s15
	s_addc_u32 s11, s11, 0
	s_mul_i32 s13, s12, s13
	s_add_u32 s2, s2, s13
	s_addc_u32 s11, 0, s11
	v_add_co_u32_e32 v1, vcc, s2, v1
	s_cmp_lg_u64 vcc, 0
	s_addc_u32 s11, s12, s11
	s_ashr_i32 s12, s3, 31
	s_add_u32 s2, s10, s12
	s_mov_b32 s13, s12
	s_addc_u32 s3, s3, s12
	s_xor_b64 s[2:3], s[2:3], s[12:13]
	v_readfirstlane_b32 s16, v1
	s_mul_i32 s15, s2, s11
	s_mul_hi_u32 s17, s2, s16
	s_mul_hi_u32 s14, s2, s11
	s_add_u32 s15, s17, s15
	s_addc_u32 s14, 0, s14
	s_mul_hi_u32 s19, s3, s16
	s_mul_i32 s16, s3, s16
	s_add_u32 s15, s15, s16
	s_mul_hi_u32 s17, s3, s11
	s_addc_u32 s14, s14, s19
	s_addc_u32 s15, s17, 0
	s_mul_i32 s11, s3, s11
	s_add_u32 s11, s14, s11
	s_addc_u32 s14, 0, s15
	s_add_u32 s15, s11, 1
	s_addc_u32 s16, s14, 0
	s_add_u32 s17, s11, 2
	s_mul_i32 s20, s38, s14
	s_mul_hi_u32 s21, s38, s11
	s_addc_u32 s19, s14, 0
	s_add_i32 s21, s21, s20
	s_mul_i32 s20, s38, s11
	v_mov_b32_e32 v1, s20
	v_sub_co_u32_e32 v1, vcc, s2, v1
	s_cmp_lg_u64 vcc, 0
	s_subb_u32 s2, s3, s21
	v_subrev_co_u32_e32 v4, vcc, s38, v1
	s_cmp_lg_u64 vcc, 0
	s_subb_u32 s3, s2, 0
	v_readfirstlane_b32 s20, v4
	s_cmp_ge_u32 s20, s38
	s_cselect_b32 s20, -1, 0
	s_cmp_eq_u32 s3, 0
	s_cselect_b32 s3, s20, -1
	s_cmp_lg_u32 s3, 0
	s_cselect_b32 s3, s19, s16
	v_readfirstlane_b32 s16, v1
	s_cselect_b32 s15, s17, s15
	s_cmp_ge_u32 s16, s38
	s_cselect_b32 s16, -1, 0
	s_cmp_eq_u32 s2, 0
	s_cselect_b32 s2, s16, -1
	s_cmp_lg_u32 s2, 0
	s_cselect_b32 s3, s3, s14
	s_cselect_b32 s2, s15, s11
	s_xor_b64 s[2:3], s[2:3], s[12:13]
	s_sub_u32 s2, s2, s12
	s_subb_u32 s3, s3, s12
	s_cbranch_execnz .LBB0_5
.LBB0_4:
	v_cvt_f32_u32_e32 v1, s38
	s_sub_i32 s0, 0, s38
	s_mov_b32 s3, 0
	v_rcp_iflag_f32_e32 v1, v1
	v_mul_f32_e32 v1, 0x4f7ffffe, v1
	v_cvt_u32_f32_e32 v1, v1
	v_readfirstlane_b32 s1, v1
	s_mul_i32 s0, s0, s1
	s_mul_hi_u32 s0, s1, s0
	s_add_i32 s1, s1, s0
	s_mul_hi_u32 s0, s10, s1
	s_mul_i32 s2, s0, s38
	s_sub_i32 s2, s10, s2
	s_add_i32 s1, s0, 1
	s_sub_i32 s10, s2, s38
	s_cmp_ge_u32 s2, s38
	s_cselect_b32 s0, s1, s0
	s_cselect_b32 s2, s10, s2
	s_add_i32 s1, s0, 1
	s_cmp_ge_u32 s2, s38
	s_cselect_b32 s2, s1, s0
.LBB0_5:
	v_mov_b32_e32 v1, 0
	v_mov_b32_e32 v4, s6
	v_mad_u64_u32 v[14:15], s[0:1], s7, v4, v[0:1]
	s_add_u32 s0, s2, 1
	s_addc_u32 s1, s3, 0
	s_mul_hi_u32 s2, s18, s7
	s_mul_i32 s1, s33, s1
	s_mul_hi_u32 s3, s33, s0
	s_add_i32 s1, s3, s1
	s_mul_i32 s2, s2, s0
	s_add_i32 s1, s1, s2
	s_mul_i32 s0, s33, s0
	s_lshl_b64 s[10:11], s[0:1], 1
	v_cmp_gt_i64_e32 vcc, s[10:11], v[14:15]
	s_and_saveexec_b64 s[0:1], vcc
	s_cbranch_execz .LBB0_22
; %bb.6:
	v_mov_b32_e32 v4, v13
	s_mov_b32 s0, 0xdb3d7428
	v_add_co_u32_e32 v57, vcc, s0, v4
	s_mov_b32 s0, 0x5384540f
	v_add_co_u32_e32 v58, vcc, s0, v12
	;; [unrolled: 2-line block ×7, first 2 shown]
	s_mov_b32 s0, 0x9e3779b9
	v_alignbit_b32 v65, v3, v2, 2
	s_mov_b32 s40, 0xd2511f53
	v_add_co_u32_e32 v64, vcc, s0, v12
	v_mad_u64_u32 v[6:7], s[0:1], v65, s40, 0
	v_and_b32_e32 v54, 3, v2
	v_xor_b32_e32 v2, v7, v13
	v_xor_b32_e32 v2, v2, v15
	s_mov_b32 s41, 0xcd9e8d57
	v_mad_u64_u32 v[8:9], s[0:1], v2, s41, 0
	v_xor_b32_e32 v2, v64, v9
	v_mad_u64_u32 v[10:11], s[0:1], v14, s41, 0
	v_xor_b32_e32 v2, v2, v10
	;; [unrolled: 2-line block ×3, first 2 shown]
	v_lshrrev_b32_e32 v66, 2, v3
	v_xor_b32_e32 v2, v2, v66
	v_xor_b32_e32 v5, v63, v17
	v_mad_u64_u32 v[2:3], s[0:1], v2, s40, 0
	v_xor_b32_e32 v2, v5, v2
	v_mad_u64_u32 v[10:11], s[0:1], v2, s41, 0
	s_mov_b32 s0, 0xbb67ae85
	v_add_co_u32_e32 v67, vcc, s0, v4
	v_xor_b32_e32 v2, v67, v3
	v_xor_b32_e32 v2, v2, v6
	v_xor_b32_e32 v5, v62, v11
	v_mad_u64_u32 v[2:3], s[0:1], v2, s41, 0
	v_xor_b32_e32 v2, v5, v2
	v_mad_u64_u32 v[6:7], s[0:1], v2, s40, 0
	s_mov_b32 s0, 0x3c6ef372
	v_add_co_u32_e32 v68, vcc, s0, v12
	v_xor_b32_e32 v2, v68, v3
	;; [unrolled: 8-line block ×7, first 2 shown]
	v_xor_b32_e32 v2, v2, v16
	v_mad_u64_u32 v[2:3], s[0:1], v2, s41, 0
	s_mov_b32 s0, 0xf1bbcdc8
	v_add_u32_e32 v55, 0x8ff34781, v12
	v_xor_b32_e32 v2, v21, v2
	v_add_co_u32_e32 v74, vcc, s0, v12
	s_load_dwordx2 s[16:17], s[4:5], 0x30
	s_load_dword s2, s[4:5], 0x38
	s_load_dwordx4 s[12:15], s[4:5], 0x40
	v_xor_b32_e32 v6, v55, v2
	v_xor_b32_e32 v2, v74, v3
	;; [unrolled: 1-line block ×3, first 2 shown]
	v_mad_u64_u32 v[2:3], s[0:1], v2, s40, 0
	s_mul_i32 s0, s6, s7
	v_mov_b32_e32 v9, v2
	v_add_u32_e32 v2, s0, v0
	s_waitcnt lgkmcnt(0)
	s_mul_i32 s0, s18, s2
	s_mul_i32 s0, s0, s7
	s_lshl_b32 s42, s0, 1
	s_add_i32 s0, s6, s18
	s_mul_i32 s0, s0, s7
	s_mov_b32 s39, 0
	v_add_u32_e32 v56, 0x96a522ad, v13
	v_xor_b32_e32 v3, v3, v18
	v_add_u32_e32 v0, s0, v0
	s_mov_b32 s6, 0x55555555
	s_mov_b32 s18, 0xbf559e2b
	;; [unrolled: 1-line block ×9, first 2 shown]
	v_xor_b32_e32 v8, v56, v3
	v_mov_b32_e32 v7, v20
	v_mul_lo_u32 v75, s2, v2
	v_mul_lo_u32 v76, s2, v0
	s_mov_b64 s[4:5], 0
	s_mov_b32 s7, 0x3fe55555
	s_mov_b32 s19, 0x3fc3ab76
	;; [unrolled: 1-line block ×5, first 2 shown]
	s_brev_b32 s27, 8
	s_mov_b32 s29, 0x3f3e357e
	s_mov_b32 s31, 0x400921fb
	;; [unrolled: 1-line block ×3, first 2 shown]
	v_mov_b32_e32 v16, 0x6b47b09a
	v_mov_b32_e32 v17, 0x3fc38538
	v_mov_b32_e32 v18, 0xd7f4df2e
	v_mov_b32_e32 v19, 0x3fc7474d
	v_mov_b32_e32 v20, 0x16291751
	v_mov_b32_e32 v21, 0x3fcc71c0
	v_mov_b32_e32 v22, 0x9b27acf1
	v_mov_b32_e32 v23, 0x3fd24924
	v_mov_b32_e32 v24, 0x998ef7b6
	v_mov_b32_e32 v25, 0x3fd99999
	v_mov_b32_e32 v26, 0x55555780
	v_mov_b32_e32 v27, 0x3fe55555
	v_mov_b32_e32 v28, 0x6fdffd2b
	v_mov_b32_e32 v29, 0xbf7e2fe7
	v_mov_b32_e32 v30, 0xd5f14825
	v_mov_b32_e32 v31, 0x3fb50782
	v_mov_b32_e32 v32, 0xcdfe9424
	v_mov_b32_e32 v33, 0xbfe32d2c
	v_mov_b32_e32 v34, 0x67754fff
	v_mov_b32_e32 v35, 0x400466bc
	v_mov_b32_e32 v36, 0xe625be09
	v_mov_b32_e32 v37, 0xc014abbc
	v_mov_b32_e32 v38, 0xca1d4f33
	v_mov_b32_e32 v39, 0x3f5f9c89
	v_mov_b32_e32 v40, 0x7294bff9
	v_mov_b32_e32 v41, 0xbf9a6d1e
	v_mov_b32_e32 v42, 0x67b90b37
	v_mov_b32_e32 v43, 0x3fce1f50
	v_mov_b32_e32 v44, 0x7e3c325b
	v_mov_b32_e32 v45, 0xbff55d3c
	v_mov_b32_e32 v46, 0x81b5a67
	v_mov_b32_e32 v47, 0x40103c1f
	v_mov_b32_e32 v48, 0xc9be45de
	v_mov_b32_e32 v49, 0xc013bd3c
	s_mov_b32 s43, s39
	v_mov_b32_e32 v77, 0x260
	v_mov_b32_e32 v78, 0x7ff00000
	;; [unrolled: 1-line block ×6, first 2 shown]
	s_branch .LBB0_8
.LBB0_7:                                ;   in Loop: Header=BB0_8 Depth=1
	s_or_b64 exec, exec, s[36:37]
	v_add_co_u32_e32 v14, vcc, s38, v14
	v_mov_b32_e32 v5, v50
	v_addc_co_u32_e32 v15, vcc, 0, v15, vcc
	s_add_i32 s43, s43, s42
	v_cmp_le_i64_e32 vcc, s[10:11], v[14:15]
	v_pk_mov_b32 v[8:9], v[4:5], v[4:5] op_sel:[0,1]
	s_or_b64 s[4:5], vcc, s[4:5]
	v_pk_mov_b32 v[6:7], v[2:3], v[2:3] op_sel:[0,1]
	s_barrier
	s_andn2_b64 exec, exec, s[4:5]
	s_cbranch_execz .LBB0_22
.LBB0_8:                                ; =>This Inner Loop Header: Depth=1
	v_add_co_u32_e32 v65, vcc, 1, v65
	v_cndmask_b32_e64 v0, 0, 1, vcc
	v_addc_co_u32_e32 v66, vcc, 0, v66, vcc
	v_cmp_eq_u32_e32 vcc, 0, v66
	v_cndmask_b32_e32 v0, 0, v0, vcc
	v_add_u32_e32 v81, v0, v81
	v_cmp_eq_u32_e32 vcc, 0, v81
	v_cndmask_b32_e32 v0, 0, v0, vcc
	v_mad_u64_u32 v[2:3], s[0:1], v65, s40, 0
	v_mad_u64_u32 v[4:5], s[0:1], v81, s41, 0
	v_add_u32_e32 v82, v0, v82
	v_xor_b32_e32 v0, v5, v12
	v_xor_b32_e32 v3, v3, v13
	v_xor_b32_e32 v0, v66, v0
	v_xor_b32_e32 v3, v82, v3
	v_mad_u64_u32 v[10:11], s[0:1], v0, s40, 0
	v_mad_u64_u32 v[50:51], s[0:1], v3, s41, 0
	v_xor_b32_e32 v0, v64, v51
	v_xor_b32_e32 v3, v67, v11
	v_xor_b32_e32 v0, v0, v4
	v_xor_b32_e32 v4, v3, v2
	v_mad_u64_u32 v[2:3], s[0:1], v0, s40, 0
	v_mad_u64_u32 v[4:5], s[0:1], v4, s41, 0
	;; [unrolled: 6-line block ×9, first 2 shown]
	v_xor_b32_e32 v0, v11, v2
	v_xor_b32_e32 v2, v55, v0
	;; [unrolled: 1-line block ×4, first 2 shown]
	v_mov_b32_e32 v3, v10
	v_mov_b32_e32 v4, v11
	v_cmp_lt_i32_e32 vcc, 1, v54
	s_and_saveexec_b64 s[0:1], vcc
	s_xor_b64 s[0:1], exec, s[0:1]
	s_cbranch_execz .LBB0_14
; %bb.9:                                ;   in Loop: Header=BB0_8 Depth=1
	v_cmp_lt_i32_e32 vcc, 2, v54
	s_and_saveexec_b64 s[2:3], vcc
	s_xor_b64 s[2:3], exec, s[2:3]
; %bb.10:                               ;   in Loop: Header=BB0_8 Depth=1
	v_mov_b32_e32 v8, v9
	v_mov_b32_e32 v9, v2
	v_pk_mov_b32 v[6:7], v[8:9], v[8:9] op_sel:[0,1]
	v_pk_mov_b32 v[8:9], v[10:11], v[10:11] op_sel:[0,1]
                                        ; implicit-def: $vgpr10_vgpr11
; %bb.11:                               ;   in Loop: Header=BB0_8 Depth=1
	s_andn2_saveexec_b64 s[2:3], s[2:3]
; %bb.12:                               ;   in Loop: Header=BB0_8 Depth=1
	v_mov_b32_e32 v6, v8
	v_mov_b32_e32 v7, v9
	;; [unrolled: 1-line block ×4, first 2 shown]
; %bb.13:                               ;   in Loop: Header=BB0_8 Depth=1
	s_or_b64 exec, exec, s[2:3]
.LBB0_14:                               ;   in Loop: Header=BB0_8 Depth=1
	s_andn2_saveexec_b64 s[0:1], s[0:1]
	s_cbranch_execz .LBB0_18
; %bb.15:                               ;   in Loop: Header=BB0_8 Depth=1
	v_cmp_eq_u32_e32 vcc, 1, v54
	s_and_saveexec_b64 s[2:3], vcc
; %bb.16:                               ;   in Loop: Header=BB0_8 Depth=1
	v_mov_b32_e32 v6, v7
	v_mov_b32_e32 v7, v8
	;; [unrolled: 1-line block ×4, first 2 shown]
; %bb.17:                               ;   in Loop: Header=BB0_8 Depth=1
	s_or_b64 exec, exec, s[2:3]
.LBB0_18:                               ;   in Loop: Header=BB0_8 Depth=1
	s_or_b64 exec, exec, s[0:1]
	v_mov_b32_e32 v0, v7
	v_lshlrev_b64 v[10:11], 21, v[0:1]
	v_xor_b32_e32 v0, v10, v6
	v_cvt_f64_u32_e32 v[6:7], v11
	v_ldexp_f64 v[6:7], v[6:7], 32
	v_cvt_f64_u32_e32 v[10:11], v0
	v_add_f64 v[6:7], v[6:7], v[10:11]
	v_mov_b32_e32 v10, 0
	v_mov_b32_e32 v11, 0x3ca00000
	v_fmac_f64_e32 v[10:11], 0x3ca00000, v[6:7]
	v_frexp_mant_f64_e32 v[52:53], v[10:11]
	v_cmp_gt_f64_e32 vcc, s[6:7], v[52:53]
	v_mov_b32_e32 v5, 0x3ff00000
	v_cndmask_b32_e64 v85, v5, 2.0, vcc
	v_mov_b32_e32 v84, v1
	v_mul_f64 v[52:53], v[52:53], v[84:85]
	v_add_f64 v[84:85], v[52:53], 1.0
	v_rcp_f64_e32 v[86:87], v[84:85]
	v_add_f64 v[90:91], v[84:85], -1.0
	v_add_f64 v[88:89], v[52:53], -1.0
	v_add_f64 v[52:53], v[52:53], -v[90:91]
	v_fma_f64 v[90:91], -v[84:85], v[86:87], 1.0
	v_fmac_f64_e32 v[86:87], v[90:91], v[86:87]
	v_fma_f64 v[90:91], -v[84:85], v[86:87], 1.0
	v_fmac_f64_e32 v[86:87], v[90:91], v[86:87]
	v_mul_f64 v[90:91], v[88:89], v[86:87]
	v_mul_f64 v[92:93], v[84:85], v[90:91]
	v_fma_f64 v[84:85], v[90:91], v[84:85], -v[92:93]
	v_fmac_f64_e32 v[84:85], v[90:91], v[52:53]
	v_add_f64 v[52:53], v[92:93], v[84:85]
	v_add_f64 v[94:95], v[88:89], -v[52:53]
	v_add_f64 v[92:93], v[52:53], -v[92:93]
	;; [unrolled: 1-line block ×5, first 2 shown]
	v_add_f64 v[52:53], v[84:85], v[52:53]
	v_add_f64 v[52:53], v[94:95], v[52:53]
	v_mul_f64 v[52:53], v[86:87], v[52:53]
	v_add_f64 v[84:85], v[90:91], v[52:53]
	v_add_f64 v[86:87], v[84:85], -v[90:91]
	v_add_f64 v[52:53], v[52:53], -v[86:87]
	v_mul_f64 v[86:87], v[84:85], v[84:85]
	v_pk_mov_b32 v[88:89], v[16:17], v[16:17] op_sel:[0,1]
	v_fmac_f64_e32 v[88:89], s[18:19], v[86:87]
	v_pk_mov_b32 v[90:91], v[18:19], v[18:19] op_sel:[0,1]
	v_fmac_f64_e32 v[90:91], v[86:87], v[88:89]
	;; [unrolled: 2-line block ×6, first 2 shown]
	v_ldexp_f64 v[88:89], v[84:85], 1
	v_mul_f64 v[84:85], v[84:85], v[86:87]
	v_mul_f64 v[84:85], v[84:85], v[90:91]
	v_add_f64 v[86:87], v[88:89], v[84:85]
	v_mov_b32_e32 v0, v9
	v_add_f64 v[88:89], v[86:87], -v[88:89]
	v_lshlrev_b64 v[6:7], 21, v[0:1]
	v_ldexp_f64 v[52:53], v[52:53], 1
	v_add_f64 v[84:85], v[84:85], -v[88:89]
	v_xor_b32_e32 v0, v6, v8
	v_add_f64 v[52:53], v[52:53], v[84:85]
	v_cvt_f64_u32_e32 v[8:9], v0
	v_frexp_exp_i32_f64_e32 v0, v[10:11]
	v_add_f64 v[84:85], v[86:87], v[52:53]
	v_subbrev_co_u32_e32 v0, vcc, 0, v0, vcc
	v_add_f64 v[86:87], v[84:85], -v[86:87]
	v_add_f64 v[52:53], v[52:53], -v[86:87]
	v_cvt_f64_i32_e32 v[86:87], v0
	v_mul_f64 v[88:89], v[86:87], s[20:21]
	v_fma_f64 v[90:91], v[86:87], s[20:21], -v[88:89]
	v_fmac_f64_e32 v[90:91], s[22:23], v[86:87]
	v_add_f64 v[86:87], v[88:89], v[90:91]
	v_add_f64 v[88:89], v[86:87], -v[88:89]
	v_add_f64 v[88:89], v[90:91], -v[88:89]
	v_add_f64 v[90:91], v[86:87], v[84:85]
	v_add_f64 v[92:93], v[90:91], -v[86:87]
	v_add_f64 v[94:95], v[90:91], -v[92:93]
	;; [unrolled: 1-line block ×4, first 2 shown]
	v_add_f64 v[84:85], v[84:85], v[86:87]
	v_add_f64 v[86:87], v[88:89], v[52:53]
	v_add_f64 v[92:93], v[86:87], -v[88:89]
	v_add_f64 v[94:95], v[86:87], -v[92:93]
	v_add_f64 v[84:85], v[86:87], v[84:85]
	v_add_f64 v[88:89], v[88:89], -v[94:95]
	v_add_f64 v[52:53], v[52:53], -v[92:93]
	v_add_f64 v[86:87], v[90:91], v[84:85]
	v_add_f64 v[52:53], v[52:53], v[88:89]
	v_add_f64 v[88:89], v[86:87], -v[90:91]
	v_add_f64 v[84:85], v[84:85], -v[88:89]
	v_add_f64 v[52:53], v[52:53], v[84:85]
	v_add_f64 v[52:53], v[86:87], v[52:53]
	v_cmp_eq_f64_e32 vcc, s[24:25], v[10:11]
	v_cndmask_b32_e32 v53, v53, v11, vcc
	v_cndmask_b32_e32 v52, v52, v10, vcc
	v_mul_f64 v[52:53], v[52:53], -2.0
	v_cmp_neq_f64_e32 vcc, 0, v[10:11]
	v_cndmask_b32_e32 v11, v78, v53, vcc
	v_cndmask_b32_e32 v10, 0, v52, vcc
	v_cmp_gt_f64_e32 vcc, s[26:27], v[10:11]
	v_cndmask_b32_e64 v0, 0, 1, vcc
	v_lshlrev_b32_e32 v0, 8, v0
	v_ldexp_f64 v[10:11], v[10:11], v0
	v_cvt_f64_u32_e32 v[6:7], v7
	v_rsq_f64_e32 v[52:53], v[10:11]
	v_ldexp_f64 v[6:7], v[6:7], 32
	v_add_f64 v[6:7], v[6:7], v[8:9]
	v_mov_b32_e32 v8, 0
	v_mov_b32_e32 v9, 0x3cb00000
	v_fmac_f64_e32 v[8:9], 0x3cb00000, v[6:7]
	v_mul_f64 v[6:7], v[10:11], v[52:53]
	v_mul_f64 v[52:53], v[52:53], 0.5
	v_fma_f64 v[84:85], -v[52:53], v[6:7], 0.5
	v_fmac_f64_e32 v[6:7], v[6:7], v[84:85]
	v_fma_f64 v[86:87], -v[6:7], v[6:7], v[10:11]
	v_fmac_f64_e32 v[52:53], v[52:53], v[84:85]
	v_fmac_f64_e32 v[6:7], v[86:87], v[52:53]
	v_fma_f64 v[84:85], -v[6:7], v[6:7], v[10:11]
	v_fmac_f64_e32 v[6:7], v[84:85], v[52:53]
	v_cndmask_b32_e32 v0, 0, v79, vcc
	v_ldexp_f64 v[6:7], v[6:7], v0
	v_cmp_class_f64_e32 vcc, v[10:11], v77
	v_cndmask_b32_e32 v7, v7, v11, vcc
	v_cndmask_b32_e32 v6, v6, v10, vcc
	v_mul_f64 v[10:11], v[8:9], 0.5
	v_fract_f64_e32 v[52:53], v[10:11]
	v_add_f64 v[52:53], v[52:53], v[52:53]
	v_cmp_neq_f64_e32 vcc, s[24:25], v[10:11]
	v_cndmask_b32_e32 v0, 0, v52, vcc
	v_cndmask_b32_e32 v5, 0, v53, vcc
	v_cmp_lt_f64_e32 vcc, 1.0, v[8:9]
	v_cndmask_b32_e32 v53, v9, v5, vcc
	v_cndmask_b32_e32 v52, v8, v0, vcc
	v_add_f64 v[10:11], v[52:53], v[52:53]
	v_rndne_f64_e32 v[10:11], v[10:11]
	v_fmac_f64_e32 v[52:53], -0.5, v[10:11]
	v_cvt_i32_f64_e32 v5, v[10:11]
	v_mul_f64 v[84:85], v[52:53], v[52:53]
	v_pk_mov_b32 v[10:11], v[28:29], v[28:29] op_sel:[0,1]
	v_fmac_f64_e32 v[10:11], s[28:29], v[84:85]
	v_pk_mov_b32 v[86:87], v[30:31], v[30:31] op_sel:[0,1]
	v_fmac_f64_e32 v[86:87], v[84:85], v[10:11]
	;; [unrolled: 2-line block ×5, first 2 shown]
	v_mul_f64 v[86:87], v[52:53], v[84:85]
	v_mul_f64 v[10:11], v[86:87], v[10:11]
	v_fmac_f64_e32 v[10:11], s[30:31], v[52:53]
	v_pk_mov_b32 v[52:53], v[38:39], v[38:39] op_sel:[0,1]
	v_fmac_f64_e32 v[52:53], s[34:35], v[84:85]
	v_pk_mov_b32 v[86:87], v[40:41], v[40:41] op_sel:[0,1]
	;; [unrolled: 2-line block ×6, first 2 shown]
	v_fmac_f64_e32 v[86:87], v[84:85], v[52:53]
	v_lshlrev_b32_e32 v0, 30, v5
	v_and_b32_e32 v5, 1, v5
	v_fma_f64 v[52:53], v[84:85], v[86:87], 1.0
	v_cmp_eq_u32_e64 s[0:1], 0, v5
	v_cmp_lg_f64_e32 vcc, s[24:25], v[8:9]
	v_cmp_gt_i64_e64 s[2:3], s[8:9], v[14:15]
	s_and_saveexec_b64 s[36:37], s[2:3]
	s_cbranch_execz .LBB0_20
; %bb.19:                               ;   in Loop: Header=BB0_8 Depth=1
	v_xor_b32_e32 v9, v0, v9
	v_cndmask_b32_e64 v8, v53, v11, s[0:1]
	v_and_b32_e32 v9, 0x80000000, v9
	v_cndmask_b32_e64 v5, v52, v10, s[0:1]
	v_xor_b32_e32 v9, v8, v9
	v_cndmask_b32_e32 v8, 0, v5, vcc
	v_cndmask_b32_e32 v9, v80, v9, vcc
	v_add_u32_e32 v5, s43, v75
	v_mul_f64 v[8:9], v[6:7], v[8:9]
	v_ashrrev_i32_e32 v51, 31, v5
	v_mov_b32_e32 v83, s17
	v_add_co_u32_e64 v84, s[2:3], s16, v5
	v_pk_mov_b32 v[86:87], s[12:13], s[12:13] op_sel:[0,1]
	v_addc_co_u32_e64 v85, s[2:3], v83, v51, s[2:3]
	v_fma_f64 v[8:9], s[14:15], v[8:9], v[86:87]
	global_store_dwordx2 v[84:85], v[8:9], off
.LBB0_20:                               ;   in Loop: Header=BB0_8 Depth=1
	s_or_b64 exec, exec, s[36:37]
	v_mov_b32_e32 v5, s39
	v_add_co_u32_e64 v8, s[2:3], s33, v14
	v_addc_co_u32_e64 v9, s[2:3], v5, v15, s[2:3]
	v_cmp_gt_i64_e64 s[2:3], s[8:9], v[8:9]
	s_and_saveexec_b64 s[36:37], s[2:3]
	s_cbranch_execz .LBB0_7
; %bb.21:                               ;   in Loop: Header=BB0_8 Depth=1
	v_xor_b32_e32 v5, 0x80000000, v11
	v_and_b32_e32 v0, 0x80000000, v0
	v_cndmask_b32_e64 v5, v5, v53, s[0:1]
	v_cndmask_b32_e64 v8, v10, v52, s[0:1]
	v_xor_b32_e32 v0, v5, v0
	v_cndmask_b32_e32 v9, v80, v0, vcc
	v_cndmask_b32_e32 v8, 0, v8, vcc
	v_add_u32_e32 v0, s43, v76
	v_mul_f64 v[6:7], v[6:7], v[8:9]
	v_ashrrev_i32_e32 v5, 31, v0
	v_mov_b32_e32 v9, s17
	v_add_co_u32_e32 v8, vcc, s16, v0
	v_pk_mov_b32 v[10:11], s[12:13], s[12:13] op_sel:[0,1]
	v_addc_co_u32_e32 v9, vcc, v9, v5, vcc
	v_fma_f64 v[6:7], s[14:15], v[6:7], v[10:11]
	global_store_dwordx2 v[8:9], v[6:7], off
	s_branch .LBB0_7
.LBB0_22:
	s_endpgm
.LBB0_23:
                                        ; implicit-def: $sgpr2_sgpr3
	s_andn2_b64 vcc, exec, s[0:1]
	s_cbranch_vccz .LBB0_4
	s_branch .LBB0_5
	.section	.rodata,"a",@progbits
	.p2align	6, 0x0
	.amdhsa_kernel _ZN2at6native12_GLOBAL__N_143distribution_elementwise_grid_stride_kernelIdLi2EZNS0_9templates4cuda20normal_and_transformIddPNS_17CUDAGeneratorImplEZZZNS4_13normal_kernelIS7_EEvRKNS_10TensorBaseEddT_ENKUlvE_clEvENKUlvE_clEvEUldE_EEvRNS_18TensorIteratorBaseET1_T2_EUlP25hiprandStatePhilox4_32_10E_ZNS1_27distribution_nullary_kernelIdd15HIP_vector_typeIdLj2EES7_SM_SF_EEvSH_SJ_RKT3_T4_EUlidE_EEvlNS_15PhiloxCudaStateESI_SJ_
		.amdhsa_group_segment_fixed_size 0
		.amdhsa_private_segment_fixed_size 0
		.amdhsa_kernarg_size 336
		.amdhsa_user_sgpr_count 6
		.amdhsa_user_sgpr_private_segment_buffer 1
		.amdhsa_user_sgpr_dispatch_ptr 0
		.amdhsa_user_sgpr_queue_ptr 0
		.amdhsa_user_sgpr_kernarg_segment_ptr 1
		.amdhsa_user_sgpr_dispatch_id 0
		.amdhsa_user_sgpr_flat_scratch_init 0
		.amdhsa_user_sgpr_kernarg_preload_length 0
		.amdhsa_user_sgpr_kernarg_preload_offset 0
		.amdhsa_user_sgpr_private_segment_size 0
		.amdhsa_uses_dynamic_stack 0
		.amdhsa_system_sgpr_private_segment_wavefront_offset 0
		.amdhsa_system_sgpr_workgroup_id_x 1
		.amdhsa_system_sgpr_workgroup_id_y 0
		.amdhsa_system_sgpr_workgroup_id_z 0
		.amdhsa_system_sgpr_workgroup_info 0
		.amdhsa_system_vgpr_workitem_id 0
		.amdhsa_next_free_vgpr 96
		.amdhsa_next_free_sgpr 44
		.amdhsa_accum_offset 96
		.amdhsa_reserve_vcc 1
		.amdhsa_reserve_flat_scratch 0
		.amdhsa_float_round_mode_32 0
		.amdhsa_float_round_mode_16_64 0
		.amdhsa_float_denorm_mode_32 3
		.amdhsa_float_denorm_mode_16_64 3
		.amdhsa_dx10_clamp 1
		.amdhsa_ieee_mode 1
		.amdhsa_fp16_overflow 0
		.amdhsa_tg_split 0
		.amdhsa_exception_fp_ieee_invalid_op 0
		.amdhsa_exception_fp_denorm_src 0
		.amdhsa_exception_fp_ieee_div_zero 0
		.amdhsa_exception_fp_ieee_overflow 0
		.amdhsa_exception_fp_ieee_underflow 0
		.amdhsa_exception_fp_ieee_inexact 0
		.amdhsa_exception_int_div_zero 0
	.end_amdhsa_kernel
	.section	.text._ZN2at6native12_GLOBAL__N_143distribution_elementwise_grid_stride_kernelIdLi2EZNS0_9templates4cuda20normal_and_transformIddPNS_17CUDAGeneratorImplEZZZNS4_13normal_kernelIS7_EEvRKNS_10TensorBaseEddT_ENKUlvE_clEvENKUlvE_clEvEUldE_EEvRNS_18TensorIteratorBaseET1_T2_EUlP25hiprandStatePhilox4_32_10E_ZNS1_27distribution_nullary_kernelIdd15HIP_vector_typeIdLj2EES7_SM_SF_EEvSH_SJ_RKT3_T4_EUlidE_EEvlNS_15PhiloxCudaStateESI_SJ_,"axG",@progbits,_ZN2at6native12_GLOBAL__N_143distribution_elementwise_grid_stride_kernelIdLi2EZNS0_9templates4cuda20normal_and_transformIddPNS_17CUDAGeneratorImplEZZZNS4_13normal_kernelIS7_EEvRKNS_10TensorBaseEddT_ENKUlvE_clEvENKUlvE_clEvEUldE_EEvRNS_18TensorIteratorBaseET1_T2_EUlP25hiprandStatePhilox4_32_10E_ZNS1_27distribution_nullary_kernelIdd15HIP_vector_typeIdLj2EES7_SM_SF_EEvSH_SJ_RKT3_T4_EUlidE_EEvlNS_15PhiloxCudaStateESI_SJ_,comdat
.Lfunc_end0:
	.size	_ZN2at6native12_GLOBAL__N_143distribution_elementwise_grid_stride_kernelIdLi2EZNS0_9templates4cuda20normal_and_transformIddPNS_17CUDAGeneratorImplEZZZNS4_13normal_kernelIS7_EEvRKNS_10TensorBaseEddT_ENKUlvE_clEvENKUlvE_clEvEUldE_EEvRNS_18TensorIteratorBaseET1_T2_EUlP25hiprandStatePhilox4_32_10E_ZNS1_27distribution_nullary_kernelIdd15HIP_vector_typeIdLj2EES7_SM_SF_EEvSH_SJ_RKT3_T4_EUlidE_EEvlNS_15PhiloxCudaStateESI_SJ_, .Lfunc_end0-_ZN2at6native12_GLOBAL__N_143distribution_elementwise_grid_stride_kernelIdLi2EZNS0_9templates4cuda20normal_and_transformIddPNS_17CUDAGeneratorImplEZZZNS4_13normal_kernelIS7_EEvRKNS_10TensorBaseEddT_ENKUlvE_clEvENKUlvE_clEvEUldE_EEvRNS_18TensorIteratorBaseET1_T2_EUlP25hiprandStatePhilox4_32_10E_ZNS1_27distribution_nullary_kernelIdd15HIP_vector_typeIdLj2EES7_SM_SF_EEvSH_SJ_RKT3_T4_EUlidE_EEvlNS_15PhiloxCudaStateESI_SJ_
                                        ; -- End function
	.section	.AMDGPU.csdata,"",@progbits
; Kernel info:
; codeLenInByte = 3836
; NumSgprs: 48
; NumVgprs: 96
; NumAgprs: 0
; TotalNumVgprs: 96
; ScratchSize: 0
; MemoryBound: 0
; FloatMode: 240
; IeeeMode: 1
; LDSByteSize: 0 bytes/workgroup (compile time only)
; SGPRBlocks: 5
; VGPRBlocks: 11
; NumSGPRsForWavesPerEU: 48
; NumVGPRsForWavesPerEU: 96
; AccumOffset: 96
; Occupancy: 5
; WaveLimiterHint : 0
; COMPUTE_PGM_RSRC2:SCRATCH_EN: 0
; COMPUTE_PGM_RSRC2:USER_SGPR: 6
; COMPUTE_PGM_RSRC2:TRAP_HANDLER: 0
; COMPUTE_PGM_RSRC2:TGID_X_EN: 1
; COMPUTE_PGM_RSRC2:TGID_Y_EN: 0
; COMPUTE_PGM_RSRC2:TGID_Z_EN: 0
; COMPUTE_PGM_RSRC2:TIDIG_COMP_CNT: 0
; COMPUTE_PGM_RSRC3_GFX90A:ACCUM_OFFSET: 23
; COMPUTE_PGM_RSRC3_GFX90A:TG_SPLIT: 0
	.section	.text._ZN2at6native12_GLOBAL__N_143distribution_elementwise_grid_stride_kernelIdLi2EZNS0_9templates4cuda20normal_and_transformIddPNS_17CUDAGeneratorImplEZZZNS4_13normal_kernelIS7_EEvRKNS_10TensorBaseEddT_ENKUlvE_clEvENKUlvE_clEvEUldE_EEvRNS_18TensorIteratorBaseET1_T2_EUlP25hiprandStatePhilox4_32_10E_ZNS1_27distribution_nullary_kernelIdd15HIP_vector_typeIdLj2EES7_SM_SF_EEvSH_SJ_RKT3_T4_EUlidE0_EEvlNS_15PhiloxCudaStateESI_SJ_,"axG",@progbits,_ZN2at6native12_GLOBAL__N_143distribution_elementwise_grid_stride_kernelIdLi2EZNS0_9templates4cuda20normal_and_transformIddPNS_17CUDAGeneratorImplEZZZNS4_13normal_kernelIS7_EEvRKNS_10TensorBaseEddT_ENKUlvE_clEvENKUlvE_clEvEUldE_EEvRNS_18TensorIteratorBaseET1_T2_EUlP25hiprandStatePhilox4_32_10E_ZNS1_27distribution_nullary_kernelIdd15HIP_vector_typeIdLj2EES7_SM_SF_EEvSH_SJ_RKT3_T4_EUlidE0_EEvlNS_15PhiloxCudaStateESI_SJ_,comdat
	.globl	_ZN2at6native12_GLOBAL__N_143distribution_elementwise_grid_stride_kernelIdLi2EZNS0_9templates4cuda20normal_and_transformIddPNS_17CUDAGeneratorImplEZZZNS4_13normal_kernelIS7_EEvRKNS_10TensorBaseEddT_ENKUlvE_clEvENKUlvE_clEvEUldE_EEvRNS_18TensorIteratorBaseET1_T2_EUlP25hiprandStatePhilox4_32_10E_ZNS1_27distribution_nullary_kernelIdd15HIP_vector_typeIdLj2EES7_SM_SF_EEvSH_SJ_RKT3_T4_EUlidE0_EEvlNS_15PhiloxCudaStateESI_SJ_ ; -- Begin function _ZN2at6native12_GLOBAL__N_143distribution_elementwise_grid_stride_kernelIdLi2EZNS0_9templates4cuda20normal_and_transformIddPNS_17CUDAGeneratorImplEZZZNS4_13normal_kernelIS7_EEvRKNS_10TensorBaseEddT_ENKUlvE_clEvENKUlvE_clEvEUldE_EEvRNS_18TensorIteratorBaseET1_T2_EUlP25hiprandStatePhilox4_32_10E_ZNS1_27distribution_nullary_kernelIdd15HIP_vector_typeIdLj2EES7_SM_SF_EEvSH_SJ_RKT3_T4_EUlidE0_EEvlNS_15PhiloxCudaStateESI_SJ_
	.p2align	8
	.type	_ZN2at6native12_GLOBAL__N_143distribution_elementwise_grid_stride_kernelIdLi2EZNS0_9templates4cuda20normal_and_transformIddPNS_17CUDAGeneratorImplEZZZNS4_13normal_kernelIS7_EEvRKNS_10TensorBaseEddT_ENKUlvE_clEvENKUlvE_clEvEUldE_EEvRNS_18TensorIteratorBaseET1_T2_EUlP25hiprandStatePhilox4_32_10E_ZNS1_27distribution_nullary_kernelIdd15HIP_vector_typeIdLj2EES7_SM_SF_EEvSH_SJ_RKT3_T4_EUlidE0_EEvlNS_15PhiloxCudaStateESI_SJ_,@function
_ZN2at6native12_GLOBAL__N_143distribution_elementwise_grid_stride_kernelIdLi2EZNS0_9templates4cuda20normal_and_transformIddPNS_17CUDAGeneratorImplEZZZNS4_13normal_kernelIS7_EEvRKNS_10TensorBaseEddT_ENKUlvE_clEvENKUlvE_clEvEUldE_EEvRNS_18TensorIteratorBaseET1_T2_EUlP25hiprandStatePhilox4_32_10E_ZNS1_27distribution_nullary_kernelIdd15HIP_vector_typeIdLj2EES7_SM_SF_EEvSH_SJ_RKT3_T4_EUlidE0_EEvlNS_15PhiloxCudaStateESI_SJ_: ; @_ZN2at6native12_GLOBAL__N_143distribution_elementwise_grid_stride_kernelIdLi2EZNS0_9templates4cuda20normal_and_transformIddPNS_17CUDAGeneratorImplEZZZNS4_13normal_kernelIS7_EEvRKNS_10TensorBaseEddT_ENKUlvE_clEvENKUlvE_clEvEUldE_EEvRNS_18TensorIteratorBaseET1_T2_EUlP25hiprandStatePhilox4_32_10E_ZNS1_27distribution_nullary_kernelIdd15HIP_vector_typeIdLj2EES7_SM_SF_EEvSH_SJ_RKT3_T4_EUlidE0_EEvlNS_15PhiloxCudaStateESI_SJ_
; %bb.0:
	s_load_dword s2, s[4:5], 0x20
	s_load_dwordx2 s[0:1], s[4:5], 0x10
	s_load_dwordx4 s[24:27], s[4:5], 0x0
	s_waitcnt lgkmcnt(0)
	s_bitcmp0_b32 s2, 0
	s_mov_b32 s2, 0
	v_pk_mov_b32 v[2:3], s[0:1], s[0:1] op_sel:[0,1]
	v_pk_mov_b32 v[12:13], s[26:27], s[26:27] op_sel:[0,1]
	s_cbranch_scc1 .LBB1_2
; %bb.1:
	v_pk_mov_b32 v[2:3], s[0:1], s[0:1] op_sel:[0,1]
	flat_load_dwordx2 v[2:3], v[2:3]
	v_pk_mov_b32 v[4:5], s[26:27], s[26:27] op_sel:[0,1]
	flat_load_dwordx2 v[12:13], v[4:5]
	s_load_dwordx2 s[0:1], s[4:5], 0x18
	s_waitcnt lgkmcnt(0)
	v_mov_b32_e32 v1, s1
	s_waitcnt vmcnt(0)
	v_add_co_u32_e32 v2, vcc, s0, v2
	v_addc_co_u32_e32 v3, vcc, v3, v1, vcc
.LBB1_2:
	s_load_dword s0, s[4:5], 0x15c
	s_load_dword s7, s[4:5], 0x150
	s_waitcnt lgkmcnt(0)
	s_and_b32 s8, s0, 0xffff
	s_add_u32 s9, s24, -1
	s_mul_i32 s33, s7, s8
	s_addc_u32 s3, s25, -1
	s_lshl_b32 s84, s33, 1
	s_cmp_lg_u64 s[2:3], 0
	s_mov_b64 s[0:1], -1
	s_cbranch_scc0 .LBB1_51
; %bb.3:
	v_cvt_f32_u32_e32 v1, s84
	v_cvt_f32_ubyte0_e32 v4, 0
	s_sub_u32 s2, 0, s84
	s_subb_u32 s10, 0, 0
	v_madmk_f32 v1, v4, 0x4f800000, v1
	v_rcp_f32_e32 v1, v1
	v_mul_f32_e32 v1, 0x5f7ffffc, v1
	v_mul_f32_e32 v4, 0x2f800000, v1
	v_trunc_f32_e32 v4, v4
	v_madmk_f32 v1, v4, 0xcf800000, v1
	v_cvt_u32_f32_e32 v4, v4
	v_cvt_u32_f32_e32 v1, v1
	v_readfirstlane_b32 s11, v4
	v_readfirstlane_b32 s12, v1
	s_mul_i32 s13, s2, s11
	s_mul_hi_u32 s15, s2, s12
	s_mul_i32 s14, s10, s12
	s_add_i32 s13, s15, s13
	s_add_i32 s13, s13, s14
	s_mul_i32 s16, s2, s12
	s_mul_hi_u32 s14, s12, s13
	s_mul_i32 s15, s12, s13
	s_mul_hi_u32 s12, s12, s16
	s_add_u32 s12, s12, s15
	s_addc_u32 s14, 0, s14
	s_mul_hi_u32 s17, s11, s16
	s_mul_i32 s16, s11, s16
	s_add_u32 s12, s12, s16
	s_mul_hi_u32 s15, s11, s13
	s_addc_u32 s12, s14, s17
	s_addc_u32 s14, s15, 0
	s_mul_i32 s13, s11, s13
	s_add_u32 s12, s12, s13
	s_addc_u32 s13, 0, s14
	v_add_co_u32_e32 v1, vcc, s12, v1
	s_cmp_lg_u64 vcc, 0
	s_addc_u32 s11, s11, s13
	v_readfirstlane_b32 s13, v1
	s_mul_i32 s12, s2, s11
	s_mul_hi_u32 s14, s2, s13
	s_add_i32 s12, s14, s12
	s_mul_i32 s10, s10, s13
	s_add_i32 s12, s12, s10
	s_mul_i32 s2, s2, s13
	s_mul_hi_u32 s14, s11, s2
	s_mul_i32 s15, s11, s2
	s_mul_i32 s17, s13, s12
	s_mul_hi_u32 s2, s13, s2
	s_mul_hi_u32 s16, s13, s12
	s_add_u32 s2, s2, s17
	s_addc_u32 s13, 0, s16
	s_add_u32 s2, s2, s15
	s_mul_hi_u32 s10, s11, s12
	s_addc_u32 s2, s13, s14
	s_addc_u32 s10, s10, 0
	s_mul_i32 s12, s11, s12
	s_add_u32 s2, s2, s12
	s_addc_u32 s10, 0, s10
	v_add_co_u32_e32 v1, vcc, s2, v1
	s_cmp_lg_u64 vcc, 0
	s_addc_u32 s12, s11, s10
	s_ashr_i32 s10, s3, 31
	s_add_u32 s2, s9, s10
	s_mov_b32 s11, s10
	s_addc_u32 s3, s3, s10
	s_xor_b64 s[2:3], s[2:3], s[10:11]
	v_readfirstlane_b32 s15, v1
	s_mul_i32 s14, s2, s12
	s_mul_hi_u32 s16, s2, s15
	s_mul_hi_u32 s13, s2, s12
	s_add_u32 s14, s16, s14
	s_addc_u32 s13, 0, s13
	s_mul_hi_u32 s17, s3, s15
	s_mul_i32 s15, s3, s15
	s_add_u32 s14, s14, s15
	s_mul_hi_u32 s16, s3, s12
	s_addc_u32 s13, s13, s17
	s_addc_u32 s14, s16, 0
	s_mul_i32 s12, s3, s12
	s_add_u32 s12, s13, s12
	s_addc_u32 s13, 0, s14
	s_add_u32 s14, s12, 1
	s_addc_u32 s15, s13, 0
	s_add_u32 s16, s12, 2
	s_mul_i32 s18, s84, s13
	s_mul_hi_u32 s19, s84, s12
	s_addc_u32 s17, s13, 0
	s_add_i32 s19, s19, s18
	s_mul_i32 s18, s84, s12
	v_mov_b32_e32 v1, s18
	v_sub_co_u32_e32 v1, vcc, s2, v1
	s_cmp_lg_u64 vcc, 0
	s_subb_u32 s2, s3, s19
	v_subrev_co_u32_e32 v4, vcc, s84, v1
	s_cmp_lg_u64 vcc, 0
	s_subb_u32 s3, s2, 0
	v_readfirstlane_b32 s18, v4
	s_cmp_ge_u32 s18, s84
	s_cselect_b32 s18, -1, 0
	s_cmp_eq_u32 s3, 0
	s_cselect_b32 s3, s18, -1
	s_cmp_lg_u32 s3, 0
	s_cselect_b32 s3, s17, s15
	v_readfirstlane_b32 s15, v1
	s_cselect_b32 s14, s16, s14
	s_cmp_ge_u32 s15, s84
	s_cselect_b32 s15, -1, 0
	s_cmp_eq_u32 s2, 0
	s_cselect_b32 s2, s15, -1
	s_cmp_lg_u32 s2, 0
	s_cselect_b32 s3, s3, s13
	s_cselect_b32 s2, s14, s12
	s_xor_b64 s[2:3], s[2:3], s[10:11]
	s_sub_u32 s2, s2, s10
	s_subb_u32 s3, s3, s10
	s_cbranch_execnz .LBB1_5
.LBB1_4:
	v_cvt_f32_u32_e32 v1, s84
	s_sub_i32 s0, 0, s84
	s_mov_b32 s3, 0
	v_rcp_iflag_f32_e32 v1, v1
	v_mul_f32_e32 v1, 0x4f7ffffe, v1
	v_cvt_u32_f32_e32 v1, v1
	v_readfirstlane_b32 s1, v1
	s_mul_i32 s0, s0, s1
	s_mul_hi_u32 s0, s1, s0
	s_add_i32 s1, s1, s0
	s_mul_hi_u32 s0, s9, s1
	s_mul_i32 s2, s0, s84
	s_sub_i32 s2, s9, s2
	s_add_i32 s1, s0, 1
	s_sub_i32 s9, s2, s84
	s_cmp_ge_u32 s2, s84
	s_cselect_b32 s0, s1, s0
	s_cselect_b32 s2, s9, s2
	s_add_i32 s1, s0, 1
	s_cmp_ge_u32 s2, s84
	s_cselect_b32 s2, s1, s0
.LBB1_5:
	v_mov_b32_e32 v1, 0
	v_mov_b32_e32 v4, s6
	v_mad_u64_u32 v[14:15], s[0:1], s8, v4, v[0:1]
	s_add_u32 s0, s2, 1
	s_addc_u32 s1, s3, 0
	s_mul_hi_u32 s2, s7, s8
	s_mul_i32 s1, s33, s1
	s_mul_hi_u32 s3, s33, s0
	s_add_i32 s1, s3, s1
	s_mul_i32 s2, s2, s0
	s_add_i32 s1, s1, s2
	s_mul_i32 s0, s33, s0
	s_lshl_b64 s[26:27], s[0:1], 1
	v_cmp_gt_i64_e32 vcc, s[26:27], v[14:15]
	s_and_saveexec_b64 s[0:1], vcc
	s_cbranch_execz .LBB1_50
; %bb.6:
	s_mov_b32 s0, 0x5384540f
	v_mov_b32_e32 v0, v13
	v_add_co_u32_e32 v60, vcc, s0, v12
	s_mov_b32 s0, 0x646e171e
	v_add_co_u32_e32 v61, vcc, s0, v0
	s_mov_b32 s0, 0x1715609d
	;; [unrolled: 2-line block ×6, first 2 shown]
	v_alignbit_b32 v67, v3, v2, 2
	s_mov_b32 s86, 0xd2511f53
	v_add_co_u32_e32 v66, vcc, s0, v12
	v_mad_u64_u32 v[4:5], s[0:1], v67, s86, 0
	v_and_b32_e32 v56, 3, v2
	v_xor_b32_e32 v2, v5, v13
	v_xor_b32_e32 v2, v2, v15
	s_mov_b32 s87, 0xcd9e8d57
	v_mad_u64_u32 v[6:7], s[0:1], v2, s87, 0
	v_xor_b32_e32 v2, v66, v7
	v_mad_u64_u32 v[8:9], s[0:1], v14, s87, 0
	v_xor_b32_e32 v2, v2, v8
	;; [unrolled: 2-line block ×3, first 2 shown]
	v_lshrrev_b32_e32 v68, 2, v3
	v_xor_b32_e32 v2, v2, v68
	v_xor_b32_e32 v5, v65, v11
	v_mad_u64_u32 v[2:3], s[0:1], v2, s86, 0
	v_xor_b32_e32 v2, v5, v2
	v_mad_u64_u32 v[8:9], s[0:1], v2, s87, 0
	s_mov_b32 s0, 0xbb67ae85
	v_add_co_u32_e32 v69, vcc, s0, v0
	v_xor_b32_e32 v2, v69, v3
	v_xor_b32_e32 v2, v2, v4
	v_xor_b32_e32 v5, v64, v9
	v_mad_u64_u32 v[2:3], s[0:1], v2, s87, 0
	v_xor_b32_e32 v2, v5, v2
	v_mad_u64_u32 v[4:5], s[0:1], v2, s86, 0
	s_mov_b32 s0, 0x3c6ef372
	v_add_co_u32_e32 v70, vcc, s0, v12
	v_xor_b32_e32 v2, v70, v3
	;; [unrolled: 8-line block ×6, first 2 shown]
	v_add_co_u32_e32 v59, vcc, 0xdb3d7428, v0
	v_xor_b32_e32 v2, v2, v6
	v_xor_b32_e32 v5, v59, v5
	v_mad_u64_u32 v[2:3], s[0:1], v2, s86, 0
	v_xor_b32_e32 v2, v5, v2
	v_mad_u64_u32 v[16:17], s[0:1], v2, s87, 0
	s_mov_b32 s0, 0x1fd5c5a3
	v_add_co_u32_e32 v75, vcc, s0, v0
	v_xor_b32_e32 v0, v75, v3
	v_xor_b32_e32 v0, v0, v10
	v_mad_u64_u32 v[2:3], s[0:1], v0, s87, 0
	s_mov_b32 s0, 0xf1bbcdc8
	s_load_dwordx8 s[8:15], s[4:5], 0x30
	v_add_u32_e32 v57, 0x8ff34781, v12
	v_xor_b32_e32 v0, v17, v2
	v_add_co_u32_e32 v76, vcc, s0, v12
	v_xor_b32_e32 v6, v57, v0
	v_xor_b32_e32 v0, v76, v3
	;; [unrolled: 1-line block ×3, first 2 shown]
	s_add_u32 s34, s4, 48
	v_mad_u64_u32 v[2:3], s[0:1], v0, s86, 0
	s_addc_u32 s35, s5, 0
	s_waitcnt lgkmcnt(0)
	s_add_i32 s0, s8, -1
	s_cmp_gt_u32 s0, 1
	s_cselect_b64 s[44:45], -1, 0
	s_cmp_lg_u32 s8, 0
	s_cselect_b64 s[46:47], -1, 0
	s_add_u32 s48, s4, 0xf4
	s_addc_u32 s49, s5, 0
	s_min_u32 s1, s0, 15
	s_cmp_gt_u32 s8, 1
	s_cselect_b64 s[50:51], -1, 0
	s_load_dwordx2 s[52:53], s[4:5], 0x148
	s_load_dwordx2 s[54:55], s[4:5], 0xf4
	s_load_dwordx4 s[28:31], s[4:5], 0x138
	s_add_i32 s1, s1, 1
	s_mov_b32 s8, s13
	s_and_b32 s13, s1, 3
	s_cmp_lg_u32 s0, 2
	s_cselect_b64 s[56:57], -1, 0
	s_and_b32 s15, s1, 28
	v_add_u32_e32 v58, 0x96a522ad, v13
	v_xor_b32_e32 v0, v3, v4
	s_cmp_lg_u32 s13, 0
	s_mov_b32 s62, 0x55555555
	s_mov_b32 s64, 0xbf559e2b
	;; [unrolled: 1-line block ×10, first 2 shown]
	v_xor_b32_e32 v8, v58, v0
	v_mov_b32_e32 v7, v16
	v_mov_b32_e32 v9, v2
	s_mov_b64 s[58:59], 0
	s_cselect_b64 s[60:61], -1, 0
	s_mov_b32 s63, 0x3fe55555
	s_mov_b32 s65, 0x3fc3ab76
	;; [unrolled: 1-line block ×5, first 2 shown]
	s_brev_b32 s73, 8
	s_mov_b32 s75, 0x3f3e357e
	s_mov_b32 s77, 0x400921fb
	;; [unrolled: 1-line block ×3, first 2 shown]
	v_mov_b32_e32 v16, 0x6b47b09a
	v_mov_b32_e32 v17, 0x3fc38538
	;; [unrolled: 1-line block ×41, first 2 shown]
	s_branch .LBB1_9
.LBB1_7:                                ;   in Loop: Header=BB1_9 Depth=1
	v_xor_b32_e32 v5, 0x80000000, v9
	v_and_b32_e32 v0, 0x80000000, v0
	v_cndmask_b32_e64 v5, v5, v11, s[2:3]
	v_cndmask_b32_e64 v8, v8, v10, s[2:3]
	v_xor_b32_e32 v0, v5, v0
	v_cndmask_b32_e64 v9, v81, v0, s[0:1]
	v_cndmask_b32_e64 v8, 0, v8, s[0:1]
	v_mul_f64 v[6:7], v[6:7], v[8:9]
	s_waitcnt lgkmcnt(0)
	v_pk_mov_b32 v[8:9], s[30:31], s[30:31] op_sel:[0,1]
	v_fma_f64 v[6:7], s[52:53], v[6:7], v[8:9]
	global_store_dwordx2 v54, v[6:7], s[28:29]
.LBB1_8:                                ;   in Loop: Header=BB1_9 Depth=1
	s_or_b64 exec, exec, s[40:41]
	v_add_co_u32_e32 v14, vcc, s84, v14
	v_mov_b32_e32 v5, v50
	v_addc_co_u32_e32 v15, vcc, 0, v15, vcc
	v_cmp_le_i64_e32 vcc, s[26:27], v[14:15]
	v_pk_mov_b32 v[8:9], v[4:5], v[4:5] op_sel:[0,1]
	s_or_b64 s[58:59], vcc, s[58:59]
	v_pk_mov_b32 v[6:7], v[2:3], v[2:3] op_sel:[0,1]
	s_waitcnt lgkmcnt(0)
	s_barrier
	s_andn2_b64 exec, exec, s[58:59]
	s_cbranch_execz .LBB1_50
.LBB1_9:                                ; =>This Loop Header: Depth=1
                                        ;     Child Loop BB1_24 Depth 2
                                        ;     Child Loop BB1_30 Depth 2
	;; [unrolled: 1-line block ×4, first 2 shown]
	v_add_co_u32_e32 v67, vcc, 1, v67
	v_cndmask_b32_e64 v0, 0, 1, vcc
	v_addc_co_u32_e32 v68, vcc, 0, v68, vcc
	v_cmp_eq_u32_e32 vcc, 0, v68
	v_cndmask_b32_e32 v0, 0, v0, vcc
	v_add_u32_e32 v82, v0, v82
	v_cmp_eq_u32_e32 vcc, 0, v82
	v_cndmask_b32_e32 v0, 0, v0, vcc
	v_mad_u64_u32 v[2:3], s[0:1], v67, s86, 0
	v_mad_u64_u32 v[4:5], s[0:1], v82, s87, 0
	v_add_u32_e32 v83, v0, v83
	v_xor_b32_e32 v0, v5, v12
	v_xor_b32_e32 v3, v3, v13
	v_xor_b32_e32 v0, v68, v0
	v_xor_b32_e32 v3, v83, v3
	v_mad_u64_u32 v[10:11], s[0:1], v0, s86, 0
	v_mad_u64_u32 v[50:51], s[0:1], v3, s87, 0
	v_xor_b32_e32 v0, v66, v51
	v_xor_b32_e32 v3, v69, v11
	v_xor_b32_e32 v0, v0, v4
	v_xor_b32_e32 v4, v3, v2
	v_mad_u64_u32 v[2:3], s[0:1], v0, s86, 0
	v_mad_u64_u32 v[4:5], s[0:1], v4, s87, 0
	;; [unrolled: 6-line block ×9, first 2 shown]
	v_xor_b32_e32 v0, v11, v2
	v_xor_b32_e32 v2, v57, v0
	;; [unrolled: 1-line block ×4, first 2 shown]
	v_mov_b32_e32 v3, v10
	v_mov_b32_e32 v4, v11
	v_cmp_lt_i32_e32 vcc, 1, v56
	s_and_saveexec_b64 s[0:1], vcc
	s_xor_b64 s[0:1], exec, s[0:1]
	s_cbranch_execz .LBB1_15
; %bb.10:                               ;   in Loop: Header=BB1_9 Depth=1
	v_cmp_lt_i32_e32 vcc, 2, v56
	s_and_saveexec_b64 s[2:3], vcc
	s_xor_b64 s[2:3], exec, s[2:3]
; %bb.11:                               ;   in Loop: Header=BB1_9 Depth=1
	v_mov_b32_e32 v8, v9
	v_mov_b32_e32 v9, v2
	v_pk_mov_b32 v[6:7], v[8:9], v[8:9] op_sel:[0,1]
	v_pk_mov_b32 v[8:9], v[10:11], v[10:11] op_sel:[0,1]
                                        ; implicit-def: $vgpr10_vgpr11
; %bb.12:                               ;   in Loop: Header=BB1_9 Depth=1
	s_andn2_saveexec_b64 s[2:3], s[2:3]
; %bb.13:                               ;   in Loop: Header=BB1_9 Depth=1
	v_mov_b32_e32 v6, v8
	v_mov_b32_e32 v7, v9
	;; [unrolled: 1-line block ×4, first 2 shown]
; %bb.14:                               ;   in Loop: Header=BB1_9 Depth=1
	s_or_b64 exec, exec, s[2:3]
.LBB1_15:                               ;   in Loop: Header=BB1_9 Depth=1
	s_andn2_saveexec_b64 s[0:1], s[0:1]
	s_cbranch_execz .LBB1_19
; %bb.16:                               ;   in Loop: Header=BB1_9 Depth=1
	v_cmp_eq_u32_e32 vcc, 1, v56
	s_and_saveexec_b64 s[2:3], vcc
; %bb.17:                               ;   in Loop: Header=BB1_9 Depth=1
	v_mov_b32_e32 v6, v7
	v_mov_b32_e32 v7, v8
	;; [unrolled: 1-line block ×4, first 2 shown]
; %bb.18:                               ;   in Loop: Header=BB1_9 Depth=1
	s_or_b64 exec, exec, s[2:3]
.LBB1_19:                               ;   in Loop: Header=BB1_9 Depth=1
	s_or_b64 exec, exec, s[0:1]
	v_mov_b32_e32 v0, v7
	v_lshlrev_b64 v[10:11], 21, v[0:1]
	v_xor_b32_e32 v0, v10, v6
	v_cvt_f64_u32_e32 v[6:7], v11
	v_ldexp_f64 v[6:7], v[6:7], 32
	v_cvt_f64_u32_e32 v[10:11], v0
	v_add_f64 v[6:7], v[6:7], v[10:11]
	v_mov_b32_e32 v10, 0
	v_mov_b32_e32 v11, 0x3ca00000
	v_fmac_f64_e32 v[10:11], 0x3ca00000, v[6:7]
	v_frexp_mant_f64_e32 v[52:53], v[10:11]
	v_cmp_gt_f64_e32 vcc, s[62:63], v[52:53]
	v_cndmask_b32_e64 v55, v78, 2.0, vcc
	v_mov_b32_e32 v54, v1
	v_mul_f64 v[52:53], v[52:53], v[54:55]
	v_add_f64 v[54:55], v[52:53], 1.0
	v_rcp_f64_e32 v[84:85], v[54:55]
	v_add_f64 v[88:89], v[54:55], -1.0
	v_add_f64 v[86:87], v[52:53], -1.0
	v_add_f64 v[52:53], v[52:53], -v[88:89]
	v_fma_f64 v[88:89], -v[54:55], v[84:85], 1.0
	v_fmac_f64_e32 v[84:85], v[88:89], v[84:85]
	v_fma_f64 v[88:89], -v[54:55], v[84:85], 1.0
	v_fmac_f64_e32 v[84:85], v[88:89], v[84:85]
	v_mul_f64 v[88:89], v[86:87], v[84:85]
	v_mul_f64 v[90:91], v[54:55], v[88:89]
	v_fma_f64 v[54:55], v[88:89], v[54:55], -v[90:91]
	v_fmac_f64_e32 v[54:55], v[88:89], v[52:53]
	v_add_f64 v[52:53], v[90:91], v[54:55]
	v_add_f64 v[92:93], v[86:87], -v[52:53]
	v_add_f64 v[90:91], v[52:53], -v[90:91]
	v_add_f64 v[86:87], v[86:87], -v[92:93]
	v_add_f64 v[52:53], v[86:87], -v[52:53]
	v_add_f64 v[54:55], v[90:91], -v[54:55]
	v_add_f64 v[52:53], v[54:55], v[52:53]
	v_add_f64 v[52:53], v[92:93], v[52:53]
	v_mul_f64 v[52:53], v[84:85], v[52:53]
	v_add_f64 v[54:55], v[88:89], v[52:53]
	v_add_f64 v[84:85], v[54:55], -v[88:89]
	v_add_f64 v[52:53], v[52:53], -v[84:85]
	v_mul_f64 v[84:85], v[54:55], v[54:55]
	v_pk_mov_b32 v[86:87], v[16:17], v[16:17] op_sel:[0,1]
	v_fmac_f64_e32 v[86:87], s[64:65], v[84:85]
	v_pk_mov_b32 v[88:89], v[18:19], v[18:19] op_sel:[0,1]
	v_fmac_f64_e32 v[88:89], v[84:85], v[86:87]
	;; [unrolled: 2-line block ×6, first 2 shown]
	v_ldexp_f64 v[86:87], v[54:55], 1
	v_mul_f64 v[54:55], v[54:55], v[84:85]
	v_mul_f64 v[54:55], v[54:55], v[88:89]
	v_add_f64 v[84:85], v[86:87], v[54:55]
	v_mov_b32_e32 v0, v9
	v_add_f64 v[86:87], v[84:85], -v[86:87]
	v_lshlrev_b64 v[6:7], 21, v[0:1]
	v_ldexp_f64 v[52:53], v[52:53], 1
	v_add_f64 v[54:55], v[54:55], -v[86:87]
	v_xor_b32_e32 v0, v6, v8
	v_add_f64 v[52:53], v[52:53], v[54:55]
	v_cvt_f64_u32_e32 v[8:9], v0
	v_frexp_exp_i32_f64_e32 v0, v[10:11]
	v_add_f64 v[54:55], v[84:85], v[52:53]
	v_subbrev_co_u32_e32 v0, vcc, 0, v0, vcc
	v_add_f64 v[84:85], v[54:55], -v[84:85]
	v_add_f64 v[52:53], v[52:53], -v[84:85]
	v_cvt_f64_i32_e32 v[84:85], v0
	v_mul_f64 v[86:87], v[84:85], s[66:67]
	v_fma_f64 v[88:89], v[84:85], s[66:67], -v[86:87]
	v_fmac_f64_e32 v[88:89], s[68:69], v[84:85]
	v_add_f64 v[84:85], v[86:87], v[88:89]
	v_add_f64 v[86:87], v[84:85], -v[86:87]
	v_add_f64 v[86:87], v[88:89], -v[86:87]
	v_add_f64 v[88:89], v[84:85], v[54:55]
	v_add_f64 v[90:91], v[88:89], -v[84:85]
	v_add_f64 v[92:93], v[88:89], -v[90:91]
	;; [unrolled: 1-line block ×4, first 2 shown]
	v_add_f64 v[54:55], v[54:55], v[84:85]
	v_add_f64 v[84:85], v[86:87], v[52:53]
	v_add_f64 v[90:91], v[84:85], -v[86:87]
	v_add_f64 v[92:93], v[84:85], -v[90:91]
	v_add_f64 v[54:55], v[84:85], v[54:55]
	v_add_f64 v[86:87], v[86:87], -v[92:93]
	v_add_f64 v[52:53], v[52:53], -v[90:91]
	v_add_f64 v[84:85], v[88:89], v[54:55]
	v_add_f64 v[52:53], v[52:53], v[86:87]
	v_add_f64 v[86:87], v[84:85], -v[88:89]
	v_add_f64 v[54:55], v[54:55], -v[86:87]
	v_add_f64 v[52:53], v[52:53], v[54:55]
	v_add_f64 v[52:53], v[84:85], v[52:53]
	v_cmp_eq_f64_e32 vcc, s[70:71], v[10:11]
	v_cndmask_b32_e32 v53, v53, v11, vcc
	v_cndmask_b32_e32 v52, v52, v10, vcc
	v_mul_f64 v[52:53], v[52:53], -2.0
	v_cmp_neq_f64_e32 vcc, 0, v[10:11]
	v_cndmask_b32_e32 v11, v79, v53, vcc
	v_cndmask_b32_e32 v10, 0, v52, vcc
	v_cmp_gt_f64_e32 vcc, s[72:73], v[10:11]
	v_cndmask_b32_e64 v0, 0, 1, vcc
	v_lshlrev_b32_e32 v0, 8, v0
	v_ldexp_f64 v[10:11], v[10:11], v0
	v_rsq_f64_e32 v[54:55], v[10:11]
	v_cvt_f64_u32_e32 v[6:7], v7
	v_ldexp_f64 v[6:7], v[6:7], 32
	v_mov_b32_e32 v52, 0
	v_add_f64 v[6:7], v[6:7], v[8:9]
	v_mov_b32_e32 v53, 0x3cb00000
	v_fmac_f64_e32 v[52:53], 0x3cb00000, v[6:7]
	v_mul_f64 v[6:7], v[10:11], v[54:55]
	v_mul_f64 v[8:9], v[54:55], 0.5
	v_fma_f64 v[54:55], -v[8:9], v[6:7], 0.5
	v_fmac_f64_e32 v[6:7], v[6:7], v[54:55]
	v_fma_f64 v[84:85], -v[6:7], v[6:7], v[10:11]
	v_fmac_f64_e32 v[8:9], v[8:9], v[54:55]
	v_fmac_f64_e32 v[6:7], v[84:85], v[8:9]
	v_fma_f64 v[54:55], -v[6:7], v[6:7], v[10:11]
	v_fmac_f64_e32 v[6:7], v[54:55], v[8:9]
	v_cndmask_b32_e32 v0, 0, v80, vcc
	v_ldexp_f64 v[6:7], v[6:7], v0
	v_cmp_class_f64_e32 vcc, v[10:11], v77
	v_mul_f64 v[8:9], v[52:53], 0.5
	v_cndmask_b32_e32 v7, v7, v11, vcc
	v_cndmask_b32_e32 v6, v6, v10, vcc
	v_fract_f64_e32 v[10:11], v[8:9]
	v_add_f64 v[10:11], v[10:11], v[10:11]
	v_cmp_neq_f64_e32 vcc, s[70:71], v[8:9]
	v_cndmask_b32_e32 v0, 0, v10, vcc
	v_cndmask_b32_e32 v5, 0, v11, vcc
	v_cmp_lt_f64_e32 vcc, 1.0, v[52:53]
	v_cndmask_b32_e32 v11, v53, v5, vcc
	v_cndmask_b32_e32 v10, v52, v0, vcc
	v_add_f64 v[8:9], v[10:11], v[10:11]
	v_rndne_f64_e32 v[8:9], v[8:9]
	v_fmac_f64_e32 v[10:11], -0.5, v[8:9]
	v_cvt_i32_f64_e32 v5, v[8:9]
	v_mul_f64 v[54:55], v[10:11], v[10:11]
	v_pk_mov_b32 v[8:9], v[28:29], v[28:29] op_sel:[0,1]
	v_fmac_f64_e32 v[8:9], s[74:75], v[54:55]
	v_pk_mov_b32 v[84:85], v[30:31], v[30:31] op_sel:[0,1]
	v_fmac_f64_e32 v[84:85], v[54:55], v[8:9]
	;; [unrolled: 2-line block ×5, first 2 shown]
	v_mul_f64 v[84:85], v[10:11], v[54:55]
	v_mul_f64 v[8:9], v[84:85], v[8:9]
	v_fmac_f64_e32 v[8:9], s[76:77], v[10:11]
	v_pk_mov_b32 v[10:11], v[38:39], v[38:39] op_sel:[0,1]
	v_fmac_f64_e32 v[10:11], s[78:79], v[54:55]
	v_pk_mov_b32 v[84:85], v[40:41], v[40:41] op_sel:[0,1]
	;; [unrolled: 2-line block ×6, first 2 shown]
	v_lshlrev_b32_e32 v0, 30, v5
	v_and_b32_e32 v5, 1, v5
	v_fmac_f64_e32 v[84:85], v[54:55], v[10:11]
	v_cmp_eq_u32_e64 s[2:3], 0, v5
	v_cndmask_b32_e64 v5, 0, 1, s[44:45]
	v_fma_f64 v[10:11], v[54:55], v[84:85], 1.0
	v_cmp_lg_f64_e64 s[0:1], s[70:71], v[52:53]
	v_cmp_gt_i64_e32 vcc, s[24:25], v[14:15]
	v_cmp_ne_u32_e64 s[4:5], 1, v5
	s_and_saveexec_b64 s[6:7], vcc
	s_cbranch_execz .LBB1_35
; %bb.20:                               ;   in Loop: Header=BB1_9 Depth=1
	s_and_b64 vcc, exec, s[4:5]
	s_cbranch_vccnz .LBB1_26
; %bb.21:                               ;   in Loop: Header=BB1_9 Depth=1
	s_andn2_b64 vcc, exec, s[46:47]
	s_cbranch_vccnz .LBB1_27
; %bb.22:                               ;   in Loop: Header=BB1_9 Depth=1
	s_mov_b32 s18, 0
	s_andn2_b64 vcc, exec, s[56:57]
	v_mov_b32_e32 v54, 0
	s_cbranch_vccnz .LBB1_28
; %bb.23:                               ;   in Loop: Header=BB1_9 Depth=1
	s_mov_b32 s88, 0
	v_mov_b32_e32 v54, 0
	s_mov_b64 s[80:81], s[34:35]
	s_mov_b64 s[82:83], s[48:49]
	v_mov_b32_e32 v5, v14
.LBB1_24:                               ;   Parent Loop BB1_9 Depth=1
                                        ; =>  This Inner Loop Header: Depth=2
	s_load_dwordx8 s[16:23], s[80:81], 0x4
	s_load_dwordx4 s[36:39], s[80:81], 0x24
	s_load_dwordx4 s[40:43], s[82:83], 0x0
	s_add_u32 s80, s80, 48
	s_addc_u32 s81, s81, 0
	s_waitcnt lgkmcnt(0)
	v_mul_hi_u32 v51, s17, v5
	v_add_u32_e32 v51, v5, v51
	v_lshrrev_b32_e32 v51, s18, v51
	v_mul_lo_u32 v52, v51, s16
	v_mul_hi_u32 v55, s20, v51
	v_sub_u32_e32 v5, v5, v52
	v_add_u32_e32 v52, v51, v55
	v_lshrrev_b32_e32 v52, s21, v52
	v_mul_lo_u32 v55, v52, s19
	v_mul_hi_u32 v84, s23, v52
	v_sub_u32_e32 v51, v51, v55
	v_add_u32_e32 v55, v52, v84
	v_mul_lo_u32 v5, v5, s40
	v_mul_lo_u32 v51, v51, s41
	v_lshrrev_b32_e32 v55, s36, v55
	v_add3_u32 v51, v5, v54, v51
	v_mul_lo_u32 v5, v55, s22
	v_mul_hi_u32 v54, s38, v55
	v_sub_u32_e32 v5, v52, v5
	v_add_u32_e32 v52, v55, v54
	v_mul_lo_u32 v54, v5, s42
	v_lshrrev_b32_e32 v5, s39, v52
	s_add_i32 s88, s88, 4
	v_mul_lo_u32 v52, v5, s37
	s_add_u32 s82, s82, 16
	v_sub_u32_e32 v52, v55, v52
	s_addc_u32 s83, s83, 0
	v_mul_lo_u32 v52, v52, s43
	s_cmp_lg_u32 s15, s88
	v_add3_u32 v54, v54, v51, v52
	s_cbranch_scc1 .LBB1_24
; %bb.25:                               ;   in Loop: Header=BB1_9 Depth=1
	s_mov_b32 s18, s15
	s_andn2_b64 vcc, exec, s[60:61]
	s_cbranch_vccz .LBB1_29
	s_branch .LBB1_31
.LBB1_26:                               ;   in Loop: Header=BB1_9 Depth=1
                                        ; implicit-def: $vgpr54
	s_branch .LBB1_32
.LBB1_27:                               ;   in Loop: Header=BB1_9 Depth=1
	v_mov_b32_e32 v54, 0
	s_branch .LBB1_31
.LBB1_28:                               ;   in Loop: Header=BB1_9 Depth=1
	v_mov_b32_e32 v5, v14
	s_andn2_b64 vcc, exec, s[60:61]
	s_cbranch_vccnz .LBB1_31
.LBB1_29:                               ;   in Loop: Header=BB1_9 Depth=1
	s_lshl_b32 s16, s18, 2
	s_add_u32 s16, s48, s16
	s_addc_u32 s17, s49, 0
	s_mul_i32 s18, s18, 12
	s_add_u32 s18, s34, s18
	s_addc_u32 s19, s35, 0
	s_mov_b32 s20, s13
.LBB1_30:                               ;   Parent Loop BB1_9 Depth=1
                                        ; =>  This Inner Loop Header: Depth=2
	s_load_dwordx2 s[22:23], s[18:19], 0x4
	s_load_dword s21, s[18:19], 0xc
	s_load_dword s36, s[16:17], 0x0
	s_add_u32 s18, s18, 12
	s_addc_u32 s19, s19, 0
	s_waitcnt lgkmcnt(0)
	v_mul_hi_u32 v51, s23, v5
	v_add_u32_e32 v51, v5, v51
	v_lshrrev_b32_e32 v51, s21, v51
	s_add_u32 s16, s16, 4
	v_mul_lo_u32 v52, v51, s22
	s_addc_u32 s17, s17, 0
	s_add_i32 s20, s20, -1
	v_sub_u32_e32 v52, v5, v52
	s_cmp_lg_u32 s20, 0
	v_mov_b32_e32 v5, v51
	v_mad_u64_u32 v[54:55], s[22:23], v52, s36, v[54:55]
	s_cbranch_scc1 .LBB1_30
.LBB1_31:                               ;   in Loop: Header=BB1_9 Depth=1
	s_cbranch_execnz .LBB1_34
.LBB1_32:                               ;   in Loop: Header=BB1_9 Depth=1
	v_mul_hi_u32 v5, v14, s10
	v_add_u32_e32 v5, v5, v14
	v_lshrrev_b32_e32 v5, s11, v5
	v_mul_lo_u32 v51, v5, s9
	v_sub_u32_e32 v51, v14, v51
	s_andn2_b64 vcc, exec, s[50:51]
	s_waitcnt lgkmcnt(0)
	v_mul_lo_u32 v54, v51, s54
	s_cbranch_vccnz .LBB1_34
; %bb.33:                               ;   in Loop: Header=BB1_9 Depth=1
	v_mul_hi_u32 v51, s8, v5
	v_add_u32_e32 v51, v5, v51
	v_lshrrev_b32_e32 v51, s14, v51
	v_mul_lo_u32 v51, v51, s12
	v_sub_u32_e32 v5, v5, v51
	v_mad_u64_u32 v[54:55], s[16:17], v5, s55, v[54:55]
.LBB1_34:                               ;   in Loop: Header=BB1_9 Depth=1
	v_xor_b32_e32 v52, v0, v53
	v_cndmask_b32_e64 v51, v11, v9, s[2:3]
	v_and_b32_e32 v52, 0x80000000, v52
	v_cndmask_b32_e64 v5, v10, v8, s[2:3]
	v_xor_b32_e32 v51, v51, v52
	v_cndmask_b32_e64 v52, 0, v5, s[0:1]
	v_cndmask_b32_e64 v53, v81, v51, s[0:1]
	v_mul_f64 v[52:53], v[6:7], v[52:53]
	s_waitcnt lgkmcnt(0)
	v_pk_mov_b32 v[84:85], s[30:31], s[30:31] op_sel:[0,1]
	v_fma_f64 v[52:53], s[52:53], v[52:53], v[84:85]
	global_store_dwordx2 v54, v[52:53], s[28:29]
.LBB1_35:                               ;   in Loop: Header=BB1_9 Depth=1
	s_or_b64 exec, exec, s[6:7]
	v_mov_b32_e32 v5, s85
	v_add_co_u32_e32 v52, vcc, s33, v14
	v_addc_co_u32_e32 v53, vcc, v15, v5, vcc
	v_cmp_gt_i64_e32 vcc, s[24:25], v[52:53]
	s_and_saveexec_b64 s[40:41], vcc
	s_cbranch_execz .LBB1_8
; %bb.36:                               ;   in Loop: Header=BB1_9 Depth=1
	s_and_b64 vcc, exec, s[4:5]
	s_cbranch_vccnz .LBB1_42
; %bb.37:                               ;   in Loop: Header=BB1_9 Depth=1
	s_andn2_b64 vcc, exec, s[46:47]
	s_cbranch_vccnz .LBB1_43
; %bb.38:                               ;   in Loop: Header=BB1_9 Depth=1
	s_mov_b32 s6, 0
	s_andn2_b64 vcc, exec, s[56:57]
	v_mov_b32_e32 v54, 0
	s_cbranch_vccnz .LBB1_44
; %bb.39:                               ;   in Loop: Header=BB1_9 Depth=1
	s_mov_b32 s82, 0
	v_mov_b32_e32 v54, 0
	s_mov_b64 s[42:43], s[34:35]
	s_mov_b64 s[80:81], s[48:49]
	v_mov_b32_e32 v5, v52
.LBB1_40:                               ;   Parent Loop BB1_9 Depth=1
                                        ; =>  This Inner Loop Header: Depth=2
	s_load_dwordx8 s[16:23], s[42:43], 0x4
	s_load_dwordx4 s[4:7], s[42:43], 0x24
	s_load_dwordx4 s[36:39], s[80:81], 0x0
	s_add_u32 s42, s42, 48
	s_addc_u32 s43, s43, 0
	s_waitcnt lgkmcnt(0)
	v_mul_hi_u32 v51, s17, v5
	v_add_u32_e32 v51, v5, v51
	v_lshrrev_b32_e32 v51, s18, v51
	v_mul_lo_u32 v53, v51, s16
	v_mul_hi_u32 v55, s20, v51
	v_sub_u32_e32 v5, v5, v53
	v_add_u32_e32 v53, v51, v55
	v_lshrrev_b32_e32 v53, s21, v53
	v_mul_lo_u32 v55, v53, s19
	v_mul_hi_u32 v84, s23, v53
	v_sub_u32_e32 v51, v51, v55
	v_add_u32_e32 v55, v53, v84
	v_mul_lo_u32 v5, v5, s36
	v_mul_lo_u32 v51, v51, s37
	v_lshrrev_b32_e32 v55, s4, v55
	v_add3_u32 v51, v5, v54, v51
	v_mul_lo_u32 v5, v55, s22
	v_mul_hi_u32 v54, s6, v55
	v_sub_u32_e32 v5, v53, v5
	v_add_u32_e32 v53, v55, v54
	v_mul_lo_u32 v54, v5, s38
	v_lshrrev_b32_e32 v5, s7, v53
	s_add_i32 s82, s82, 4
	v_mul_lo_u32 v53, v5, s5
	s_add_u32 s80, s80, 16
	v_sub_u32_e32 v53, v55, v53
	s_addc_u32 s81, s81, 0
	v_mul_lo_u32 v53, v53, s39
	s_cmp_eq_u32 s15, s82
	v_add3_u32 v54, v54, v51, v53
	s_cbranch_scc0 .LBB1_40
; %bb.41:                               ;   in Loop: Header=BB1_9 Depth=1
	s_mov_b32 s6, s15
	s_andn2_b64 vcc, exec, s[60:61]
	s_cbranch_vccz .LBB1_45
	s_branch .LBB1_47
.LBB1_42:                               ;   in Loop: Header=BB1_9 Depth=1
                                        ; implicit-def: $vgpr54
	s_branch .LBB1_48
.LBB1_43:                               ;   in Loop: Header=BB1_9 Depth=1
	v_mov_b32_e32 v54, 0
	s_branch .LBB1_47
.LBB1_44:                               ;   in Loop: Header=BB1_9 Depth=1
	v_mov_b32_e32 v5, v52
	s_andn2_b64 vcc, exec, s[60:61]
	s_cbranch_vccnz .LBB1_47
.LBB1_45:                               ;   in Loop: Header=BB1_9 Depth=1
	s_lshl_b32 s4, s6, 2
	s_add_u32 s4, s48, s4
	s_addc_u32 s5, s49, 0
	s_mul_i32 s6, s6, 12
	s_add_u32 s6, s34, s6
	s_addc_u32 s7, s35, 0
	s_mov_b32 s16, s13
.LBB1_46:                               ;   Parent Loop BB1_9 Depth=1
                                        ; =>  This Inner Loop Header: Depth=2
	s_load_dwordx2 s[18:19], s[6:7], 0x4
	s_load_dword s17, s[6:7], 0xc
	s_load_dword s20, s[4:5], 0x0
	s_add_u32 s6, s6, 12
	s_addc_u32 s7, s7, 0
	s_waitcnt lgkmcnt(0)
	v_mul_hi_u32 v51, s19, v5
	v_add_u32_e32 v51, v5, v51
	v_lshrrev_b32_e32 v51, s17, v51
	s_add_u32 s4, s4, 4
	v_mul_lo_u32 v53, v51, s18
	s_addc_u32 s5, s5, 0
	s_add_i32 s16, s16, -1
	v_sub_u32_e32 v53, v5, v53
	s_cmp_lg_u32 s16, 0
	v_mov_b32_e32 v5, v51
	v_mad_u64_u32 v[54:55], s[18:19], v53, s20, v[54:55]
	s_cbranch_scc1 .LBB1_46
.LBB1_47:                               ;   in Loop: Header=BB1_9 Depth=1
	s_cbranch_execnz .LBB1_7
.LBB1_48:                               ;   in Loop: Header=BB1_9 Depth=1
	v_mul_hi_u32 v5, v52, s10
	v_add_u32_e32 v5, v5, v52
	v_lshrrev_b32_e32 v5, s11, v5
	v_mul_lo_u32 v51, v5, s9
	v_sub_u32_e32 v51, v52, v51
	s_andn2_b64 vcc, exec, s[50:51]
	s_waitcnt lgkmcnt(0)
	v_mul_lo_u32 v54, v51, s54
	s_cbranch_vccnz .LBB1_7
; %bb.49:                               ;   in Loop: Header=BB1_9 Depth=1
	v_mul_hi_u32 v51, s8, v5
	v_add_u32_e32 v51, v5, v51
	v_lshrrev_b32_e32 v51, s14, v51
	v_mul_lo_u32 v51, v51, s12
	v_sub_u32_e32 v5, v5, v51
	v_mad_u64_u32 v[54:55], s[4:5], v5, s55, v[54:55]
	s_branch .LBB1_7
.LBB1_50:
	s_endpgm
.LBB1_51:
                                        ; implicit-def: $sgpr2_sgpr3
	s_andn2_b64 vcc, exec, s[0:1]
	s_cbranch_vccz .LBB1_4
	s_branch .LBB1_5
	.section	.rodata,"a",@progbits
	.p2align	6, 0x0
	.amdhsa_kernel _ZN2at6native12_GLOBAL__N_143distribution_elementwise_grid_stride_kernelIdLi2EZNS0_9templates4cuda20normal_and_transformIddPNS_17CUDAGeneratorImplEZZZNS4_13normal_kernelIS7_EEvRKNS_10TensorBaseEddT_ENKUlvE_clEvENKUlvE_clEvEUldE_EEvRNS_18TensorIteratorBaseET1_T2_EUlP25hiprandStatePhilox4_32_10E_ZNS1_27distribution_nullary_kernelIdd15HIP_vector_typeIdLj2EES7_SM_SF_EEvSH_SJ_RKT3_T4_EUlidE0_EEvlNS_15PhiloxCudaStateESI_SJ_
		.amdhsa_group_segment_fixed_size 0
		.amdhsa_private_segment_fixed_size 0
		.amdhsa_kernarg_size 592
		.amdhsa_user_sgpr_count 6
		.amdhsa_user_sgpr_private_segment_buffer 1
		.amdhsa_user_sgpr_dispatch_ptr 0
		.amdhsa_user_sgpr_queue_ptr 0
		.amdhsa_user_sgpr_kernarg_segment_ptr 1
		.amdhsa_user_sgpr_dispatch_id 0
		.amdhsa_user_sgpr_flat_scratch_init 0
		.amdhsa_user_sgpr_kernarg_preload_length 0
		.amdhsa_user_sgpr_kernarg_preload_offset 0
		.amdhsa_user_sgpr_private_segment_size 0
		.amdhsa_uses_dynamic_stack 0
		.amdhsa_system_sgpr_private_segment_wavefront_offset 0
		.amdhsa_system_sgpr_workgroup_id_x 1
		.amdhsa_system_sgpr_workgroup_id_y 0
		.amdhsa_system_sgpr_workgroup_id_z 0
		.amdhsa_system_sgpr_workgroup_info 0
		.amdhsa_system_vgpr_workitem_id 0
		.amdhsa_next_free_vgpr 94
		.amdhsa_next_free_sgpr 89
		.amdhsa_accum_offset 96
		.amdhsa_reserve_vcc 1
		.amdhsa_reserve_flat_scratch 0
		.amdhsa_float_round_mode_32 0
		.amdhsa_float_round_mode_16_64 0
		.amdhsa_float_denorm_mode_32 3
		.amdhsa_float_denorm_mode_16_64 3
		.amdhsa_dx10_clamp 1
		.amdhsa_ieee_mode 1
		.amdhsa_fp16_overflow 0
		.amdhsa_tg_split 0
		.amdhsa_exception_fp_ieee_invalid_op 0
		.amdhsa_exception_fp_denorm_src 0
		.amdhsa_exception_fp_ieee_div_zero 0
		.amdhsa_exception_fp_ieee_overflow 0
		.amdhsa_exception_fp_ieee_underflow 0
		.amdhsa_exception_fp_ieee_inexact 0
		.amdhsa_exception_int_div_zero 0
	.end_amdhsa_kernel
	.section	.text._ZN2at6native12_GLOBAL__N_143distribution_elementwise_grid_stride_kernelIdLi2EZNS0_9templates4cuda20normal_and_transformIddPNS_17CUDAGeneratorImplEZZZNS4_13normal_kernelIS7_EEvRKNS_10TensorBaseEddT_ENKUlvE_clEvENKUlvE_clEvEUldE_EEvRNS_18TensorIteratorBaseET1_T2_EUlP25hiprandStatePhilox4_32_10E_ZNS1_27distribution_nullary_kernelIdd15HIP_vector_typeIdLj2EES7_SM_SF_EEvSH_SJ_RKT3_T4_EUlidE0_EEvlNS_15PhiloxCudaStateESI_SJ_,"axG",@progbits,_ZN2at6native12_GLOBAL__N_143distribution_elementwise_grid_stride_kernelIdLi2EZNS0_9templates4cuda20normal_and_transformIddPNS_17CUDAGeneratorImplEZZZNS4_13normal_kernelIS7_EEvRKNS_10TensorBaseEddT_ENKUlvE_clEvENKUlvE_clEvEUldE_EEvRNS_18TensorIteratorBaseET1_T2_EUlP25hiprandStatePhilox4_32_10E_ZNS1_27distribution_nullary_kernelIdd15HIP_vector_typeIdLj2EES7_SM_SF_EEvSH_SJ_RKT3_T4_EUlidE0_EEvlNS_15PhiloxCudaStateESI_SJ_,comdat
.Lfunc_end1:
	.size	_ZN2at6native12_GLOBAL__N_143distribution_elementwise_grid_stride_kernelIdLi2EZNS0_9templates4cuda20normal_and_transformIddPNS_17CUDAGeneratorImplEZZZNS4_13normal_kernelIS7_EEvRKNS_10TensorBaseEddT_ENKUlvE_clEvENKUlvE_clEvEUldE_EEvRNS_18TensorIteratorBaseET1_T2_EUlP25hiprandStatePhilox4_32_10E_ZNS1_27distribution_nullary_kernelIdd15HIP_vector_typeIdLj2EES7_SM_SF_EEvSH_SJ_RKT3_T4_EUlidE0_EEvlNS_15PhiloxCudaStateESI_SJ_, .Lfunc_end1-_ZN2at6native12_GLOBAL__N_143distribution_elementwise_grid_stride_kernelIdLi2EZNS0_9templates4cuda20normal_and_transformIddPNS_17CUDAGeneratorImplEZZZNS4_13normal_kernelIS7_EEvRKNS_10TensorBaseEddT_ENKUlvE_clEvENKUlvE_clEvEUldE_EEvRNS_18TensorIteratorBaseET1_T2_EUlP25hiprandStatePhilox4_32_10E_ZNS1_27distribution_nullary_kernelIdd15HIP_vector_typeIdLj2EES7_SM_SF_EEvSH_SJ_RKT3_T4_EUlidE0_EEvlNS_15PhiloxCudaStateESI_SJ_
                                        ; -- End function
	.section	.AMDGPU.csdata,"",@progbits
; Kernel info:
; codeLenInByte = 4892
; NumSgprs: 93
; NumVgprs: 94
; NumAgprs: 0
; TotalNumVgprs: 94
; ScratchSize: 0
; MemoryBound: 0
; FloatMode: 240
; IeeeMode: 1
; LDSByteSize: 0 bytes/workgroup (compile time only)
; SGPRBlocks: 11
; VGPRBlocks: 11
; NumSGPRsForWavesPerEU: 93
; NumVGPRsForWavesPerEU: 94
; AccumOffset: 96
; Occupancy: 5
; WaveLimiterHint : 1
; COMPUTE_PGM_RSRC2:SCRATCH_EN: 0
; COMPUTE_PGM_RSRC2:USER_SGPR: 6
; COMPUTE_PGM_RSRC2:TRAP_HANDLER: 0
; COMPUTE_PGM_RSRC2:TGID_X_EN: 1
; COMPUTE_PGM_RSRC2:TGID_Y_EN: 0
; COMPUTE_PGM_RSRC2:TGID_Z_EN: 0
; COMPUTE_PGM_RSRC2:TIDIG_COMP_CNT: 0
; COMPUTE_PGM_RSRC3_GFX90A:ACCUM_OFFSET: 23
; COMPUTE_PGM_RSRC3_GFX90A:TG_SPLIT: 0
	.section	.text._ZN2at6native12_GLOBAL__N_143distribution_elementwise_grid_stride_kernelIdLi2EZNS0_9templates4cuda20normal_and_transformIddPNS_17CUDAGeneratorImplEZZZNS4_13normal_kernelIS7_EEvRKNS_10TensorBaseEddT_ENKUlvE_clEvENKUlvE_clEvEUldE_EEvRNS_18TensorIteratorBaseET1_T2_EUlP25hiprandStatePhilox4_32_10E0_ZNS1_27distribution_nullary_kernelIdd15HIP_vector_typeIfLj4EES7_SM_SF_EEvSH_SJ_RKT3_T4_EUlidE_EEvlNS_15PhiloxCudaStateESI_SJ_,"axG",@progbits,_ZN2at6native12_GLOBAL__N_143distribution_elementwise_grid_stride_kernelIdLi2EZNS0_9templates4cuda20normal_and_transformIddPNS_17CUDAGeneratorImplEZZZNS4_13normal_kernelIS7_EEvRKNS_10TensorBaseEddT_ENKUlvE_clEvENKUlvE_clEvEUldE_EEvRNS_18TensorIteratorBaseET1_T2_EUlP25hiprandStatePhilox4_32_10E0_ZNS1_27distribution_nullary_kernelIdd15HIP_vector_typeIfLj4EES7_SM_SF_EEvSH_SJ_RKT3_T4_EUlidE_EEvlNS_15PhiloxCudaStateESI_SJ_,comdat
	.globl	_ZN2at6native12_GLOBAL__N_143distribution_elementwise_grid_stride_kernelIdLi2EZNS0_9templates4cuda20normal_and_transformIddPNS_17CUDAGeneratorImplEZZZNS4_13normal_kernelIS7_EEvRKNS_10TensorBaseEddT_ENKUlvE_clEvENKUlvE_clEvEUldE_EEvRNS_18TensorIteratorBaseET1_T2_EUlP25hiprandStatePhilox4_32_10E0_ZNS1_27distribution_nullary_kernelIdd15HIP_vector_typeIfLj4EES7_SM_SF_EEvSH_SJ_RKT3_T4_EUlidE_EEvlNS_15PhiloxCudaStateESI_SJ_ ; -- Begin function _ZN2at6native12_GLOBAL__N_143distribution_elementwise_grid_stride_kernelIdLi2EZNS0_9templates4cuda20normal_and_transformIddPNS_17CUDAGeneratorImplEZZZNS4_13normal_kernelIS7_EEvRKNS_10TensorBaseEddT_ENKUlvE_clEvENKUlvE_clEvEUldE_EEvRNS_18TensorIteratorBaseET1_T2_EUlP25hiprandStatePhilox4_32_10E0_ZNS1_27distribution_nullary_kernelIdd15HIP_vector_typeIfLj4EES7_SM_SF_EEvSH_SJ_RKT3_T4_EUlidE_EEvlNS_15PhiloxCudaStateESI_SJ_
	.p2align	8
	.type	_ZN2at6native12_GLOBAL__N_143distribution_elementwise_grid_stride_kernelIdLi2EZNS0_9templates4cuda20normal_and_transformIddPNS_17CUDAGeneratorImplEZZZNS4_13normal_kernelIS7_EEvRKNS_10TensorBaseEddT_ENKUlvE_clEvENKUlvE_clEvEUldE_EEvRNS_18TensorIteratorBaseET1_T2_EUlP25hiprandStatePhilox4_32_10E0_ZNS1_27distribution_nullary_kernelIdd15HIP_vector_typeIfLj4EES7_SM_SF_EEvSH_SJ_RKT3_T4_EUlidE_EEvlNS_15PhiloxCudaStateESI_SJ_,@function
_ZN2at6native12_GLOBAL__N_143distribution_elementwise_grid_stride_kernelIdLi2EZNS0_9templates4cuda20normal_and_transformIddPNS_17CUDAGeneratorImplEZZZNS4_13normal_kernelIS7_EEvRKNS_10TensorBaseEddT_ENKUlvE_clEvENKUlvE_clEvEUldE_EEvRNS_18TensorIteratorBaseET1_T2_EUlP25hiprandStatePhilox4_32_10E0_ZNS1_27distribution_nullary_kernelIdd15HIP_vector_typeIfLj4EES7_SM_SF_EEvSH_SJ_RKT3_T4_EUlidE_EEvlNS_15PhiloxCudaStateESI_SJ_: ; @_ZN2at6native12_GLOBAL__N_143distribution_elementwise_grid_stride_kernelIdLi2EZNS0_9templates4cuda20normal_and_transformIddPNS_17CUDAGeneratorImplEZZZNS4_13normal_kernelIS7_EEvRKNS_10TensorBaseEddT_ENKUlvE_clEvENKUlvE_clEvEUldE_EEvRNS_18TensorIteratorBaseET1_T2_EUlP25hiprandStatePhilox4_32_10E0_ZNS1_27distribution_nullary_kernelIdd15HIP_vector_typeIfLj4EES7_SM_SF_EEvSH_SJ_RKT3_T4_EUlidE_EEvlNS_15PhiloxCudaStateESI_SJ_
; %bb.0:
	s_load_dword s2, s[4:5], 0x20
	s_load_dwordx2 s[0:1], s[4:5], 0x10
	s_load_dwordx4 s[8:11], s[4:5], 0x0
	s_waitcnt lgkmcnt(0)
	s_bitcmp0_b32 s2, 0
	s_mov_b32 s2, 0
	v_pk_mov_b32 v[2:3], s[0:1], s[0:1] op_sel:[0,1]
	v_pk_mov_b32 v[10:11], s[10:11], s[10:11] op_sel:[0,1]
	s_cbranch_scc1 .LBB2_2
; %bb.1:
	v_pk_mov_b32 v[2:3], s[0:1], s[0:1] op_sel:[0,1]
	flat_load_dwordx2 v[2:3], v[2:3]
	v_pk_mov_b32 v[4:5], s[10:11], s[10:11] op_sel:[0,1]
	flat_load_dwordx2 v[10:11], v[4:5]
	s_load_dwordx2 s[0:1], s[4:5], 0x18
	s_waitcnt lgkmcnt(0)
	v_mov_b32_e32 v1, s1
	s_waitcnt vmcnt(0)
	v_add_co_u32_e32 v2, vcc, s0, v2
	v_addc_co_u32_e32 v3, vcc, v3, v1, vcc
.LBB2_2:
	s_load_dword s0, s[4:5], 0x5c
	s_load_dword s21, s[4:5], 0x50
	s_waitcnt lgkmcnt(0)
	s_and_b32 s7, s0, 0xffff
	s_add_u32 s10, s8, -1
	s_mul_i32 s16, s21, s7
	s_addc_u32 s3, s9, -1
	s_lshl_b32 s17, s16, 1
	s_cmp_lg_u64 s[2:3], 0
	s_mov_b64 s[0:1], -1
	s_cbranch_scc0 .LBB2_23
; %bb.3:
	v_cvt_f32_u32_e32 v1, s17
	v_cvt_f32_ubyte0_e32 v4, 0
	s_sub_u32 s2, 0, s17
	s_subb_u32 s11, 0, 0
	v_madmk_f32 v1, v4, 0x4f800000, v1
	v_rcp_f32_e32 v1, v1
	v_mul_f32_e32 v1, 0x5f7ffffc, v1
	v_mul_f32_e32 v4, 0x2f800000, v1
	v_trunc_f32_e32 v4, v4
	v_madmk_f32 v1, v4, 0xcf800000, v1
	v_cvt_u32_f32_e32 v4, v4
	v_cvt_u32_f32_e32 v1, v1
	v_readfirstlane_b32 s12, v4
	v_readfirstlane_b32 s13, v1
	s_mul_i32 s14, s2, s12
	s_mul_hi_u32 s18, s2, s13
	s_mul_i32 s15, s11, s13
	s_add_i32 s14, s18, s14
	s_add_i32 s14, s14, s15
	s_mul_i32 s19, s2, s13
	s_mul_hi_u32 s15, s13, s14
	s_mul_i32 s18, s13, s14
	s_mul_hi_u32 s13, s13, s19
	s_add_u32 s13, s13, s18
	s_addc_u32 s15, 0, s15
	s_mul_hi_u32 s20, s12, s19
	s_mul_i32 s19, s12, s19
	s_add_u32 s13, s13, s19
	s_mul_hi_u32 s18, s12, s14
	s_addc_u32 s13, s15, s20
	s_addc_u32 s15, s18, 0
	s_mul_i32 s14, s12, s14
	s_add_u32 s13, s13, s14
	s_addc_u32 s14, 0, s15
	v_add_co_u32_e32 v1, vcc, s13, v1
	s_cmp_lg_u64 vcc, 0
	s_addc_u32 s12, s12, s14
	v_readfirstlane_b32 s14, v1
	s_mul_i32 s13, s2, s12
	s_mul_hi_u32 s15, s2, s14
	s_add_i32 s13, s15, s13
	s_mul_i32 s11, s11, s14
	s_add_i32 s13, s13, s11
	s_mul_i32 s2, s2, s14
	s_mul_hi_u32 s15, s12, s2
	s_mul_i32 s18, s12, s2
	s_mul_i32 s20, s14, s13
	s_mul_hi_u32 s2, s14, s2
	s_mul_hi_u32 s19, s14, s13
	s_add_u32 s2, s2, s20
	s_addc_u32 s14, 0, s19
	s_add_u32 s2, s2, s18
	s_mul_hi_u32 s11, s12, s13
	s_addc_u32 s2, s14, s15
	s_addc_u32 s11, s11, 0
	s_mul_i32 s13, s12, s13
	s_add_u32 s2, s2, s13
	s_addc_u32 s11, 0, s11
	v_add_co_u32_e32 v1, vcc, s2, v1
	s_cmp_lg_u64 vcc, 0
	s_addc_u32 s11, s12, s11
	s_ashr_i32 s12, s3, 31
	s_add_u32 s2, s10, s12
	s_mov_b32 s13, s12
	s_addc_u32 s3, s3, s12
	s_xor_b64 s[2:3], s[2:3], s[12:13]
	v_readfirstlane_b32 s18, v1
	s_mul_i32 s15, s2, s11
	s_mul_hi_u32 s19, s2, s18
	s_mul_hi_u32 s14, s2, s11
	s_add_u32 s15, s19, s15
	s_addc_u32 s14, 0, s14
	s_mul_hi_u32 s20, s3, s18
	s_mul_i32 s18, s3, s18
	s_add_u32 s15, s15, s18
	s_mul_hi_u32 s19, s3, s11
	s_addc_u32 s14, s14, s20
	s_addc_u32 s15, s19, 0
	s_mul_i32 s11, s3, s11
	s_add_u32 s11, s14, s11
	s_addc_u32 s14, 0, s15
	s_add_u32 s15, s11, 1
	s_addc_u32 s18, s14, 0
	s_add_u32 s19, s11, 2
	s_mul_i32 s22, s17, s14
	s_mul_hi_u32 s23, s17, s11
	s_addc_u32 s20, s14, 0
	s_add_i32 s23, s23, s22
	s_mul_i32 s22, s17, s11
	v_mov_b32_e32 v1, s22
	v_sub_co_u32_e32 v1, vcc, s2, v1
	s_cmp_lg_u64 vcc, 0
	s_subb_u32 s2, s3, s23
	v_subrev_co_u32_e32 v4, vcc, s17, v1
	s_cmp_lg_u64 vcc, 0
	s_subb_u32 s3, s2, 0
	v_readfirstlane_b32 s22, v4
	s_cmp_ge_u32 s22, s17
	s_cselect_b32 s22, -1, 0
	s_cmp_eq_u32 s3, 0
	s_cselect_b32 s3, s22, -1
	s_cmp_lg_u32 s3, 0
	s_cselect_b32 s3, s20, s18
	v_readfirstlane_b32 s18, v1
	s_cselect_b32 s15, s19, s15
	s_cmp_ge_u32 s18, s17
	s_cselect_b32 s18, -1, 0
	s_cmp_eq_u32 s2, 0
	s_cselect_b32 s2, s18, -1
	s_cmp_lg_u32 s2, 0
	s_cselect_b32 s3, s3, s14
	s_cselect_b32 s2, s15, s11
	s_xor_b64 s[2:3], s[2:3], s[12:13]
	s_sub_u32 s2, s2, s12
	s_subb_u32 s3, s3, s12
	s_cbranch_execnz .LBB2_5
.LBB2_4:
	v_cvt_f32_u32_e32 v1, s17
	s_sub_i32 s0, 0, s17
	s_mov_b32 s3, 0
	v_rcp_iflag_f32_e32 v1, v1
	v_mul_f32_e32 v1, 0x4f7ffffe, v1
	v_cvt_u32_f32_e32 v1, v1
	v_readfirstlane_b32 s1, v1
	s_mul_i32 s0, s0, s1
	s_mul_hi_u32 s0, s1, s0
	s_add_i32 s1, s1, s0
	s_mul_hi_u32 s0, s10, s1
	s_mul_i32 s2, s0, s17
	s_sub_i32 s2, s10, s2
	s_add_i32 s1, s0, 1
	s_sub_i32 s10, s2, s17
	s_cmp_ge_u32 s2, s17
	s_cselect_b32 s0, s1, s0
	s_cselect_b32 s2, s10, s2
	s_add_i32 s1, s0, 1
	s_cmp_ge_u32 s2, s17
	s_cselect_b32 s2, s1, s0
.LBB2_5:
	v_mov_b32_e32 v1, 0
	v_mov_b32_e32 v4, s6
	v_mad_u64_u32 v[12:13], s[0:1], s7, v4, v[0:1]
	s_add_u32 s0, s2, 1
	s_addc_u32 s1, s3, 0
	s_mul_hi_u32 s2, s21, s7
	s_mul_i32 s1, s16, s1
	s_mul_hi_u32 s3, s16, s0
	s_add_i32 s1, s3, s1
	s_mul_i32 s2, s2, s0
	s_add_i32 s1, s1, s2
	s_mul_i32 s0, s16, s0
	s_lshl_b64 s[2:3], s[0:1], 1
	v_cmp_gt_i64_e32 vcc, s[2:3], v[12:13]
	s_and_saveexec_b64 s[0:1], vcc
	s_cbranch_execz .LBB2_22
; %bb.6:
	v_mov_b32_e32 v4, v11
	s_mov_b32 s0, 0xdb3d7428
	v_add_co_u32_e32 v17, vcc, s0, v4
	s_mov_b32 s0, 0x5384540f
	v_add_co_u32_e32 v18, vcc, s0, v10
	;; [unrolled: 2-line block ×7, first 2 shown]
	s_mov_b32 s0, 0x9e3779b9
	v_alignbit_b32 v25, v3, v2, 2
	s_mov_b32 s19, 0xd2511f53
	v_add_co_u32_e32 v24, vcc, s0, v10
	v_mad_u64_u32 v[6:7], s[0:1], v25, s19, 0
	v_xor_b32_e32 v1, v7, v11
	v_xor_b32_e32 v1, v1, v13
	s_mov_b32 s20, 0xcd9e8d57
	v_mad_u64_u32 v[8:9], s[0:1], v1, s20, 0
	v_xor_b32_e32 v1, v24, v9
	v_mad_u64_u32 v[26:27], s[0:1], v12, s20, 0
	v_and_b32_e32 v14, 3, v2
	v_xor_b32_e32 v1, v1, v26
	v_xor_b32_e32 v2, v10, v27
	v_lshrrev_b32_e32 v26, 2, v3
	v_mad_u64_u32 v[30:31], s[0:1], v1, s19, 0
	v_xor_b32_e32 v2, v2, v26
	v_xor_b32_e32 v1, v23, v31
	v_mad_u64_u32 v[2:3], s[0:1], v2, s19, 0
	v_xor_b32_e32 v1, v1, v2
	v_mad_u64_u32 v[32:33], s[0:1], v1, s20, 0
	s_mov_b32 s0, 0xbb67ae85
	v_add_co_u32_e32 v27, vcc, s0, v4
	v_xor_b32_e32 v2, v27, v3
	v_xor_b32_e32 v2, v2, v6
	v_xor_b32_e32 v1, v22, v33
	v_mad_u64_u32 v[2:3], s[0:1], v2, s20, 0
	v_xor_b32_e32 v1, v1, v2
	v_mad_u64_u32 v[6:7], s[0:1], v1, s19, 0
	s_mov_b32 s0, 0x3c6ef372
	v_add_co_u32_e32 v28, vcc, s0, v10
	v_xor_b32_e32 v2, v28, v3
	;; [unrolled: 8-line block ×7, first 2 shown]
	v_xor_b32_e32 v1, v1, v34
	v_mad_u64_u32 v[2:3], s[0:1], v1, s20, 0
	s_mov_b32 s0, 0xf1bbcdc8
	v_add_u32_e32 v15, 0x8ff34781, v10
	v_xor_b32_e32 v1, v9, v2
	v_add_co_u32_e32 v34, vcc, s0, v10
	s_load_dwordx2 s[10:11], s[4:5], 0x30
	s_load_dword s23, s[4:5], 0x38
	s_load_dwordx4 s[12:15], s[4:5], 0x40
	v_xor_b32_e32 v2, v15, v1
	v_xor_b32_e32 v1, v34, v3
	;; [unrolled: 1-line block ×3, first 2 shown]
	v_mad_u64_u32 v[36:37], s[0:1], v1, s19, 0
	v_add_u32_e32 v16, 0x96a522ad, v11
	v_xor_b32_e32 v1, v37, v6
	s_mul_i32 s0, s6, s7
	v_xor_b32_e32 v4, v16, v1
	v_add_u32_e32 v1, s0, v0
	s_waitcnt lgkmcnt(0)
	s_mul_i32 s0, s21, s23
	s_mul_i32 s0, s0, s7
	s_lshl_b32 s22, s0, 1
	s_add_i32 s0, s6, s21
	s_mul_i32 s0, s0, s7
	s_mov_b32 s18, 0
	v_add_u32_e32 v0, s0, v0
	v_mov_b32_e32 v3, v8
	v_mov_b32_e32 v5, v36
	v_mul_lo_u32 v35, s23, v1
	v_mul_lo_u32 v36, s23, v0
	s_mov_b64 s[4:5], 0
	s_mov_b32 s21, 0x800000
	s_mov_b32 s23, 0x3f317217
	;; [unrolled: 1-line block ×4, first 2 shown]
	v_mov_b32_e32 v37, 0x260
	v_mov_b32_e32 v38, 0x4f800000
	;; [unrolled: 1-line block ×3, first 2 shown]
	s_mov_b32 s26, s18
	v_mov_b32_e32 v40, v12
	v_mov_b32_e32 v41, v13
	s_branch .LBB2_8
.LBB2_7:                                ;   in Loop: Header=BB2_8 Depth=1
	s_or_b64 exec, exec, s[0:1]
	v_add_co_u32_e32 v12, vcc, s17, v12
	v_addc_co_u32_e32 v13, vcc, 0, v13, vcc
	v_mov_b32_e32 v9, v0
	s_add_i32 s26, s26, s22
	v_cmp_le_i64_e32 vcc, s[2:3], v[12:13]
	v_pk_mov_b32 v[2:3], v[6:7], v[6:7] op_sel:[0,1]
	s_or_b64 s[4:5], vcc, s[4:5]
	v_pk_mov_b32 v[4:5], v[8:9], v[8:9] op_sel:[0,1]
	s_barrier
	s_andn2_b64 exec, exec, s[4:5]
	s_cbranch_execz .LBB2_22
.LBB2_8:                                ; =>This Inner Loop Header: Depth=1
	v_add_co_u32_e32 v25, vcc, 1, v25
	v_cndmask_b32_e64 v0, 0, 1, vcc
	v_addc_co_u32_e32 v26, vcc, 0, v26, vcc
	v_cmp_eq_u32_e32 vcc, 0, v26
	v_cndmask_b32_e32 v0, 0, v0, vcc
	v_add_u32_e32 v40, v0, v40
	v_cmp_eq_u32_e32 vcc, 0, v40
	v_cndmask_b32_e32 v0, 0, v0, vcc
	v_add_u32_e32 v41, v0, v41
	v_mad_u64_u32 v[0:1], s[0:1], v25, s19, 0
	v_mad_u64_u32 v[6:7], s[0:1], v40, s20, 0
	v_xor_b32_e32 v1, v1, v11
	v_xor_b32_e32 v7, v7, v10
	v_xor_b32_e32 v1, v41, v1
	v_xor_b32_e32 v7, v26, v7
	v_mad_u64_u32 v[42:43], s[0:1], v1, s20, 0
	v_mad_u64_u32 v[8:9], s[0:1], v7, s19, 0
	v_xor_b32_e32 v1, v24, v43
	v_xor_b32_e32 v1, v1, v6
	v_xor_b32_e32 v6, v27, v9
	v_xor_b32_e32 v6, v6, v0
	;; [unrolled: 6-line block ×10, first 2 shown]
	v_mov_b32_e32 v7, v42
	v_cmp_lt_i32_e32 vcc, 1, v14
	s_and_saveexec_b64 s[0:1], vcc
	s_xor_b64 s[0:1], exec, s[0:1]
	s_cbranch_execz .LBB2_14
; %bb.9:                                ;   in Loop: Header=BB2_8 Depth=1
	v_cmp_lt_i32_e32 vcc, 2, v14
	s_and_saveexec_b64 s[6:7], vcc
	s_xor_b64 s[6:7], exec, s[6:7]
; %bb.10:                               ;   in Loop: Header=BB2_8 Depth=1
	v_mov_b32_e32 v2, v5
	v_mov_b32_e32 v3, v6
; %bb.11:                               ;   in Loop: Header=BB2_8 Depth=1
	s_andn2_saveexec_b64 s[6:7], s[6:7]
; %bb.12:                               ;   in Loop: Header=BB2_8 Depth=1
	v_mov_b32_e32 v2, v4
	v_mov_b32_e32 v3, v5
; %bb.13:                               ;   in Loop: Header=BB2_8 Depth=1
	s_or_b64 exec, exec, s[6:7]
.LBB2_14:                               ;   in Loop: Header=BB2_8 Depth=1
	s_andn2_saveexec_b64 s[0:1], s[0:1]
	s_cbranch_execz .LBB2_18
; %bb.15:                               ;   in Loop: Header=BB2_8 Depth=1
	v_cmp_eq_u32_e32 vcc, 1, v14
	s_and_saveexec_b64 s[6:7], vcc
; %bb.16:                               ;   in Loop: Header=BB2_8 Depth=1
	v_mov_b32_e32 v2, v3
	v_mov_b32_e32 v3, v4
; %bb.17:                               ;   in Loop: Header=BB2_8 Depth=1
	s_or_b64 exec, exec, s[6:7]
.LBB2_18:                               ;   in Loop: Header=BB2_8 Depth=1
	s_or_b64 exec, exec, s[0:1]
	v_cvt_f32_u32_e32 v1, v2
	v_mov_b32_e32 v2, 0x2f800000
	v_fmac_f32_e32 v2, 0x2f800000, v1
	v_cmp_gt_f32_e32 vcc, s21, v2
	v_cndmask_b32_e32 v1, 1.0, v38, vcc
	v_mul_f32_e32 v1, v2, v1
	v_log_f32_e32 v1, v1
	v_cvt_f32_u32_e32 v2, v3
	v_cndmask_b32_e32 v3, 0, v39, vcc
	v_mul_f32_e32 v4, 0x3f317217, v1
	v_fma_f32 v5, v1, s23, -v4
	v_fmac_f32_e32 v5, 0x3377d1cf, v1
	v_add_f32_e32 v4, v4, v5
	v_cmp_lt_f32_e64 vcc, |v1|, s24
	v_cndmask_b32_e32 v1, v1, v4, vcc
	v_sub_f32_e32 v1, v1, v3
	v_mul_f32_e32 v1, -2.0, v1
	v_mul_f32_e32 v3, 0x4f800000, v1
	v_cmp_gt_f32_e32 vcc, s25, v1
	v_cndmask_b32_e32 v1, v1, v3, vcc
	v_sqrt_f32_e32 v3, v1
	v_mov_b32_e32 v4, 0x30c90fdb
	v_fmac_f32_e32 v4, 0x30c90fdb, v2
	v_add_u32_e32 v2, -1, v3
	v_fma_f32 v5, -v2, v3, v1
	v_cmp_ge_f32_e64 s[0:1], 0, v5
	v_add_u32_e32 v5, 1, v3
	v_cndmask_b32_e64 v2, v3, v2, s[0:1]
	v_fma_f32 v3, -v5, v3, v1
	v_cmp_lt_f32_e64 s[0:1], 0, v3
	v_cndmask_b32_e64 v2, v2, v5, s[0:1]
	v_mul_f32_e32 v3, 0x37800000, v2
	v_cndmask_b32_e32 v2, v2, v3, vcc
	v_cmp_class_f32_e32 vcc, v1, v37
	v_cndmask_b32_e32 v1, v2, v1, vcc
	v_cmp_gt_i64_e32 vcc, s[8:9], v[12:13]
	v_mul_f32_e32 v2, 0.15915494, v4
	s_and_saveexec_b64 s[0:1], vcc
	s_cbranch_execz .LBB2_20
; %bb.19:                               ;   in Loop: Header=BB2_8 Depth=1
	v_sin_f32_e32 v3, v2
	v_add_u32_e32 v9, s26, v35
	v_mov_b32_e32 v43, s11
	v_ashrrev_i32_e32 v44, 31, v9
	v_mul_f32_e32 v3, v3, v1
	v_add_co_u32_e32 v42, vcc, s10, v9
	v_cvt_f64_f32_e32 v[4:5], v3
	v_addc_co_u32_e32 v43, vcc, v43, v44, vcc
	v_pk_mov_b32 v[44:45], s[12:13], s[12:13] op_sel:[0,1]
	v_fma_f64 v[4:5], s[14:15], v[4:5], v[44:45]
	global_store_dwordx2 v[42:43], v[4:5], off
.LBB2_20:                               ;   in Loop: Header=BB2_8 Depth=1
	s_or_b64 exec, exec, s[0:1]
	v_mov_b32_e32 v3, s18
	v_add_co_u32_e32 v4, vcc, s16, v12
	v_addc_co_u32_e32 v5, vcc, v3, v13, vcc
	v_cmp_gt_i64_e32 vcc, s[8:9], v[4:5]
	s_and_saveexec_b64 s[0:1], vcc
	s_cbranch_execz .LBB2_7
; %bb.21:                               ;   in Loop: Header=BB2_8 Depth=1
	v_cos_f32_e32 v2, v2
	v_add_u32_e32 v4, s26, v36
	v_mov_b32_e32 v5, s11
	v_ashrrev_i32_e32 v9, 31, v4
	v_mul_f32_e32 v1, v2, v1
	v_cvt_f64_f32_e32 v[2:3], v1
	v_add_co_u32_e32 v4, vcc, s10, v4
	v_pk_mov_b32 v[42:43], s[12:13], s[12:13] op_sel:[0,1]
	v_addc_co_u32_e32 v5, vcc, v5, v9, vcc
	v_fma_f64 v[2:3], s[14:15], v[2:3], v[42:43]
	global_store_dwordx2 v[4:5], v[2:3], off
	s_branch .LBB2_7
.LBB2_22:
	s_endpgm
.LBB2_23:
                                        ; implicit-def: $sgpr2_sgpr3
	s_andn2_b64 vcc, exec, s[0:1]
	s_cbranch_vccz .LBB2_4
	s_branch .LBB2_5
	.section	.rodata,"a",@progbits
	.p2align	6, 0x0
	.amdhsa_kernel _ZN2at6native12_GLOBAL__N_143distribution_elementwise_grid_stride_kernelIdLi2EZNS0_9templates4cuda20normal_and_transformIddPNS_17CUDAGeneratorImplEZZZNS4_13normal_kernelIS7_EEvRKNS_10TensorBaseEddT_ENKUlvE_clEvENKUlvE_clEvEUldE_EEvRNS_18TensorIteratorBaseET1_T2_EUlP25hiprandStatePhilox4_32_10E0_ZNS1_27distribution_nullary_kernelIdd15HIP_vector_typeIfLj4EES7_SM_SF_EEvSH_SJ_RKT3_T4_EUlidE_EEvlNS_15PhiloxCudaStateESI_SJ_
		.amdhsa_group_segment_fixed_size 0
		.amdhsa_private_segment_fixed_size 0
		.amdhsa_kernarg_size 336
		.amdhsa_user_sgpr_count 6
		.amdhsa_user_sgpr_private_segment_buffer 1
		.amdhsa_user_sgpr_dispatch_ptr 0
		.amdhsa_user_sgpr_queue_ptr 0
		.amdhsa_user_sgpr_kernarg_segment_ptr 1
		.amdhsa_user_sgpr_dispatch_id 0
		.amdhsa_user_sgpr_flat_scratch_init 0
		.amdhsa_user_sgpr_kernarg_preload_length 0
		.amdhsa_user_sgpr_kernarg_preload_offset 0
		.amdhsa_user_sgpr_private_segment_size 0
		.amdhsa_uses_dynamic_stack 0
		.amdhsa_system_sgpr_private_segment_wavefront_offset 0
		.amdhsa_system_sgpr_workgroup_id_x 1
		.amdhsa_system_sgpr_workgroup_id_y 0
		.amdhsa_system_sgpr_workgroup_id_z 0
		.amdhsa_system_sgpr_workgroup_info 0
		.amdhsa_system_vgpr_workitem_id 0
		.amdhsa_next_free_vgpr 46
		.amdhsa_next_free_sgpr 27
		.amdhsa_accum_offset 48
		.amdhsa_reserve_vcc 1
		.amdhsa_reserve_flat_scratch 0
		.amdhsa_float_round_mode_32 0
		.amdhsa_float_round_mode_16_64 0
		.amdhsa_float_denorm_mode_32 3
		.amdhsa_float_denorm_mode_16_64 3
		.amdhsa_dx10_clamp 1
		.amdhsa_ieee_mode 1
		.amdhsa_fp16_overflow 0
		.amdhsa_tg_split 0
		.amdhsa_exception_fp_ieee_invalid_op 0
		.amdhsa_exception_fp_denorm_src 0
		.amdhsa_exception_fp_ieee_div_zero 0
		.amdhsa_exception_fp_ieee_overflow 0
		.amdhsa_exception_fp_ieee_underflow 0
		.amdhsa_exception_fp_ieee_inexact 0
		.amdhsa_exception_int_div_zero 0
	.end_amdhsa_kernel
	.section	.text._ZN2at6native12_GLOBAL__N_143distribution_elementwise_grid_stride_kernelIdLi2EZNS0_9templates4cuda20normal_and_transformIddPNS_17CUDAGeneratorImplEZZZNS4_13normal_kernelIS7_EEvRKNS_10TensorBaseEddT_ENKUlvE_clEvENKUlvE_clEvEUldE_EEvRNS_18TensorIteratorBaseET1_T2_EUlP25hiprandStatePhilox4_32_10E0_ZNS1_27distribution_nullary_kernelIdd15HIP_vector_typeIfLj4EES7_SM_SF_EEvSH_SJ_RKT3_T4_EUlidE_EEvlNS_15PhiloxCudaStateESI_SJ_,"axG",@progbits,_ZN2at6native12_GLOBAL__N_143distribution_elementwise_grid_stride_kernelIdLi2EZNS0_9templates4cuda20normal_and_transformIddPNS_17CUDAGeneratorImplEZZZNS4_13normal_kernelIS7_EEvRKNS_10TensorBaseEddT_ENKUlvE_clEvENKUlvE_clEvEUldE_EEvRNS_18TensorIteratorBaseET1_T2_EUlP25hiprandStatePhilox4_32_10E0_ZNS1_27distribution_nullary_kernelIdd15HIP_vector_typeIfLj4EES7_SM_SF_EEvSH_SJ_RKT3_T4_EUlidE_EEvlNS_15PhiloxCudaStateESI_SJ_,comdat
.Lfunc_end2:
	.size	_ZN2at6native12_GLOBAL__N_143distribution_elementwise_grid_stride_kernelIdLi2EZNS0_9templates4cuda20normal_and_transformIddPNS_17CUDAGeneratorImplEZZZNS4_13normal_kernelIS7_EEvRKNS_10TensorBaseEddT_ENKUlvE_clEvENKUlvE_clEvEUldE_EEvRNS_18TensorIteratorBaseET1_T2_EUlP25hiprandStatePhilox4_32_10E0_ZNS1_27distribution_nullary_kernelIdd15HIP_vector_typeIfLj4EES7_SM_SF_EEvSH_SJ_RKT3_T4_EUlidE_EEvlNS_15PhiloxCudaStateESI_SJ_, .Lfunc_end2-_ZN2at6native12_GLOBAL__N_143distribution_elementwise_grid_stride_kernelIdLi2EZNS0_9templates4cuda20normal_and_transformIddPNS_17CUDAGeneratorImplEZZZNS4_13normal_kernelIS7_EEvRKNS_10TensorBaseEddT_ENKUlvE_clEvENKUlvE_clEvEUldE_EEvRNS_18TensorIteratorBaseET1_T2_EUlP25hiprandStatePhilox4_32_10E0_ZNS1_27distribution_nullary_kernelIdd15HIP_vector_typeIfLj4EES7_SM_SF_EEvSH_SJ_RKT3_T4_EUlidE_EEvlNS_15PhiloxCudaStateESI_SJ_
                                        ; -- End function
	.section	.AMDGPU.csdata,"",@progbits
; Kernel info:
; codeLenInByte = 2428
; NumSgprs: 31
; NumVgprs: 46
; NumAgprs: 0
; TotalNumVgprs: 46
; ScratchSize: 0
; MemoryBound: 0
; FloatMode: 240
; IeeeMode: 1
; LDSByteSize: 0 bytes/workgroup (compile time only)
; SGPRBlocks: 3
; VGPRBlocks: 5
; NumSGPRsForWavesPerEU: 31
; NumVGPRsForWavesPerEU: 46
; AccumOffset: 48
; Occupancy: 8
; WaveLimiterHint : 0
; COMPUTE_PGM_RSRC2:SCRATCH_EN: 0
; COMPUTE_PGM_RSRC2:USER_SGPR: 6
; COMPUTE_PGM_RSRC2:TRAP_HANDLER: 0
; COMPUTE_PGM_RSRC2:TGID_X_EN: 1
; COMPUTE_PGM_RSRC2:TGID_Y_EN: 0
; COMPUTE_PGM_RSRC2:TGID_Z_EN: 0
; COMPUTE_PGM_RSRC2:TIDIG_COMP_CNT: 0
; COMPUTE_PGM_RSRC3_GFX90A:ACCUM_OFFSET: 11
; COMPUTE_PGM_RSRC3_GFX90A:TG_SPLIT: 0
	.section	.text._ZN2at6native12_GLOBAL__N_143distribution_elementwise_grid_stride_kernelIdLi2EZNS0_9templates4cuda20normal_and_transformIddPNS_17CUDAGeneratorImplEZZZNS4_13normal_kernelIS7_EEvRKNS_10TensorBaseEddT_ENKUlvE_clEvENKUlvE_clEvEUldE_EEvRNS_18TensorIteratorBaseET1_T2_EUlP25hiprandStatePhilox4_32_10E0_ZNS1_27distribution_nullary_kernelIdd15HIP_vector_typeIfLj4EES7_SM_SF_EEvSH_SJ_RKT3_T4_EUlidE0_EEvlNS_15PhiloxCudaStateESI_SJ_,"axG",@progbits,_ZN2at6native12_GLOBAL__N_143distribution_elementwise_grid_stride_kernelIdLi2EZNS0_9templates4cuda20normal_and_transformIddPNS_17CUDAGeneratorImplEZZZNS4_13normal_kernelIS7_EEvRKNS_10TensorBaseEddT_ENKUlvE_clEvENKUlvE_clEvEUldE_EEvRNS_18TensorIteratorBaseET1_T2_EUlP25hiprandStatePhilox4_32_10E0_ZNS1_27distribution_nullary_kernelIdd15HIP_vector_typeIfLj4EES7_SM_SF_EEvSH_SJ_RKT3_T4_EUlidE0_EEvlNS_15PhiloxCudaStateESI_SJ_,comdat
	.globl	_ZN2at6native12_GLOBAL__N_143distribution_elementwise_grid_stride_kernelIdLi2EZNS0_9templates4cuda20normal_and_transformIddPNS_17CUDAGeneratorImplEZZZNS4_13normal_kernelIS7_EEvRKNS_10TensorBaseEddT_ENKUlvE_clEvENKUlvE_clEvEUldE_EEvRNS_18TensorIteratorBaseET1_T2_EUlP25hiprandStatePhilox4_32_10E0_ZNS1_27distribution_nullary_kernelIdd15HIP_vector_typeIfLj4EES7_SM_SF_EEvSH_SJ_RKT3_T4_EUlidE0_EEvlNS_15PhiloxCudaStateESI_SJ_ ; -- Begin function _ZN2at6native12_GLOBAL__N_143distribution_elementwise_grid_stride_kernelIdLi2EZNS0_9templates4cuda20normal_and_transformIddPNS_17CUDAGeneratorImplEZZZNS4_13normal_kernelIS7_EEvRKNS_10TensorBaseEddT_ENKUlvE_clEvENKUlvE_clEvEUldE_EEvRNS_18TensorIteratorBaseET1_T2_EUlP25hiprandStatePhilox4_32_10E0_ZNS1_27distribution_nullary_kernelIdd15HIP_vector_typeIfLj4EES7_SM_SF_EEvSH_SJ_RKT3_T4_EUlidE0_EEvlNS_15PhiloxCudaStateESI_SJ_
	.p2align	8
	.type	_ZN2at6native12_GLOBAL__N_143distribution_elementwise_grid_stride_kernelIdLi2EZNS0_9templates4cuda20normal_and_transformIddPNS_17CUDAGeneratorImplEZZZNS4_13normal_kernelIS7_EEvRKNS_10TensorBaseEddT_ENKUlvE_clEvENKUlvE_clEvEUldE_EEvRNS_18TensorIteratorBaseET1_T2_EUlP25hiprandStatePhilox4_32_10E0_ZNS1_27distribution_nullary_kernelIdd15HIP_vector_typeIfLj4EES7_SM_SF_EEvSH_SJ_RKT3_T4_EUlidE0_EEvlNS_15PhiloxCudaStateESI_SJ_,@function
_ZN2at6native12_GLOBAL__N_143distribution_elementwise_grid_stride_kernelIdLi2EZNS0_9templates4cuda20normal_and_transformIddPNS_17CUDAGeneratorImplEZZZNS4_13normal_kernelIS7_EEvRKNS_10TensorBaseEddT_ENKUlvE_clEvENKUlvE_clEvEUldE_EEvRNS_18TensorIteratorBaseET1_T2_EUlP25hiprandStatePhilox4_32_10E0_ZNS1_27distribution_nullary_kernelIdd15HIP_vector_typeIfLj4EES7_SM_SF_EEvSH_SJ_RKT3_T4_EUlidE0_EEvlNS_15PhiloxCudaStateESI_SJ_: ; @_ZN2at6native12_GLOBAL__N_143distribution_elementwise_grid_stride_kernelIdLi2EZNS0_9templates4cuda20normal_and_transformIddPNS_17CUDAGeneratorImplEZZZNS4_13normal_kernelIS7_EEvRKNS_10TensorBaseEddT_ENKUlvE_clEvENKUlvE_clEvEUldE_EEvRNS_18TensorIteratorBaseET1_T2_EUlP25hiprandStatePhilox4_32_10E0_ZNS1_27distribution_nullary_kernelIdd15HIP_vector_typeIfLj4EES7_SM_SF_EEvSH_SJ_RKT3_T4_EUlidE0_EEvlNS_15PhiloxCudaStateESI_SJ_
; %bb.0:
	s_load_dword s2, s[4:5], 0x20
	s_load_dwordx2 s[0:1], s[4:5], 0x10
	s_load_dwordx4 s[24:27], s[4:5], 0x0
	s_waitcnt lgkmcnt(0)
	s_bitcmp0_b32 s2, 0
	s_mov_b32 s2, 0
	v_pk_mov_b32 v[2:3], s[0:1], s[0:1] op_sel:[0,1]
	v_pk_mov_b32 v[8:9], s[26:27], s[26:27] op_sel:[0,1]
	s_cbranch_scc1 .LBB3_2
; %bb.1:
	v_pk_mov_b32 v[2:3], s[0:1], s[0:1] op_sel:[0,1]
	flat_load_dwordx2 v[2:3], v[2:3]
	v_pk_mov_b32 v[4:5], s[26:27], s[26:27] op_sel:[0,1]
	flat_load_dwordx2 v[8:9], v[4:5]
	s_load_dwordx2 s[0:1], s[4:5], 0x18
	s_waitcnt lgkmcnt(0)
	v_mov_b32_e32 v1, s1
	s_waitcnt vmcnt(0)
	v_add_co_u32_e32 v2, vcc, s0, v2
	v_addc_co_u32_e32 v3, vcc, v3, v1, vcc
.LBB3_2:
	s_load_dword s0, s[4:5], 0x15c
	s_load_dword s7, s[4:5], 0x150
	s_waitcnt lgkmcnt(0)
	s_and_b32 s8, s0, 0xffff
	s_add_u32 s9, s24, -1
	s_mul_i32 s33, s7, s8
	s_addc_u32 s3, s25, -1
	s_lshl_b32 s62, s33, 1
	s_cmp_lg_u64 s[2:3], 0
	s_mov_b64 s[0:1], -1
	s_cbranch_scc0 .LBB3_51
; %bb.3:
	v_cvt_f32_u32_e32 v1, s62
	v_cvt_f32_ubyte0_e32 v4, 0
	s_sub_u32 s2, 0, s62
	s_subb_u32 s10, 0, 0
	v_madmk_f32 v1, v4, 0x4f800000, v1
	v_rcp_f32_e32 v1, v1
	v_mul_f32_e32 v1, 0x5f7ffffc, v1
	v_mul_f32_e32 v4, 0x2f800000, v1
	v_trunc_f32_e32 v4, v4
	v_madmk_f32 v1, v4, 0xcf800000, v1
	v_cvt_u32_f32_e32 v4, v4
	v_cvt_u32_f32_e32 v1, v1
	v_readfirstlane_b32 s11, v4
	v_readfirstlane_b32 s12, v1
	s_mul_i32 s13, s2, s11
	s_mul_hi_u32 s15, s2, s12
	s_mul_i32 s14, s10, s12
	s_add_i32 s13, s15, s13
	s_add_i32 s13, s13, s14
	s_mul_i32 s16, s2, s12
	s_mul_hi_u32 s14, s12, s13
	s_mul_i32 s15, s12, s13
	s_mul_hi_u32 s12, s12, s16
	s_add_u32 s12, s12, s15
	s_addc_u32 s14, 0, s14
	s_mul_hi_u32 s17, s11, s16
	s_mul_i32 s16, s11, s16
	s_add_u32 s12, s12, s16
	s_mul_hi_u32 s15, s11, s13
	s_addc_u32 s12, s14, s17
	s_addc_u32 s14, s15, 0
	s_mul_i32 s13, s11, s13
	s_add_u32 s12, s12, s13
	s_addc_u32 s13, 0, s14
	v_add_co_u32_e32 v1, vcc, s12, v1
	s_cmp_lg_u64 vcc, 0
	s_addc_u32 s11, s11, s13
	v_readfirstlane_b32 s13, v1
	s_mul_i32 s12, s2, s11
	s_mul_hi_u32 s14, s2, s13
	s_add_i32 s12, s14, s12
	s_mul_i32 s10, s10, s13
	s_add_i32 s12, s12, s10
	s_mul_i32 s2, s2, s13
	s_mul_hi_u32 s14, s11, s2
	s_mul_i32 s15, s11, s2
	s_mul_i32 s17, s13, s12
	s_mul_hi_u32 s2, s13, s2
	s_mul_hi_u32 s16, s13, s12
	s_add_u32 s2, s2, s17
	s_addc_u32 s13, 0, s16
	s_add_u32 s2, s2, s15
	s_mul_hi_u32 s10, s11, s12
	s_addc_u32 s2, s13, s14
	s_addc_u32 s10, s10, 0
	s_mul_i32 s12, s11, s12
	s_add_u32 s2, s2, s12
	s_addc_u32 s10, 0, s10
	v_add_co_u32_e32 v1, vcc, s2, v1
	s_cmp_lg_u64 vcc, 0
	s_addc_u32 s12, s11, s10
	s_ashr_i32 s10, s3, 31
	s_add_u32 s2, s9, s10
	s_mov_b32 s11, s10
	s_addc_u32 s3, s3, s10
	s_xor_b64 s[2:3], s[2:3], s[10:11]
	v_readfirstlane_b32 s15, v1
	s_mul_i32 s14, s2, s12
	s_mul_hi_u32 s16, s2, s15
	s_mul_hi_u32 s13, s2, s12
	s_add_u32 s14, s16, s14
	s_addc_u32 s13, 0, s13
	s_mul_hi_u32 s17, s3, s15
	s_mul_i32 s15, s3, s15
	s_add_u32 s14, s14, s15
	s_mul_hi_u32 s16, s3, s12
	s_addc_u32 s13, s13, s17
	s_addc_u32 s14, s16, 0
	s_mul_i32 s12, s3, s12
	s_add_u32 s12, s13, s12
	s_addc_u32 s13, 0, s14
	s_add_u32 s14, s12, 1
	s_addc_u32 s15, s13, 0
	s_add_u32 s16, s12, 2
	s_mul_i32 s18, s62, s13
	s_mul_hi_u32 s19, s62, s12
	s_addc_u32 s17, s13, 0
	s_add_i32 s19, s19, s18
	s_mul_i32 s18, s62, s12
	v_mov_b32_e32 v1, s18
	v_sub_co_u32_e32 v1, vcc, s2, v1
	s_cmp_lg_u64 vcc, 0
	s_subb_u32 s2, s3, s19
	v_subrev_co_u32_e32 v4, vcc, s62, v1
	s_cmp_lg_u64 vcc, 0
	s_subb_u32 s3, s2, 0
	v_readfirstlane_b32 s18, v4
	s_cmp_ge_u32 s18, s62
	s_cselect_b32 s18, -1, 0
	s_cmp_eq_u32 s3, 0
	s_cselect_b32 s3, s18, -1
	s_cmp_lg_u32 s3, 0
	s_cselect_b32 s3, s17, s15
	v_readfirstlane_b32 s15, v1
	s_cselect_b32 s14, s16, s14
	s_cmp_ge_u32 s15, s62
	s_cselect_b32 s15, -1, 0
	s_cmp_eq_u32 s2, 0
	s_cselect_b32 s2, s15, -1
	s_cmp_lg_u32 s2, 0
	s_cselect_b32 s3, s3, s13
	s_cselect_b32 s2, s14, s12
	s_xor_b64 s[2:3], s[2:3], s[10:11]
	s_sub_u32 s2, s2, s10
	s_subb_u32 s3, s3, s10
	s_cbranch_execnz .LBB3_5
.LBB3_4:
	v_cvt_f32_u32_e32 v1, s62
	s_sub_i32 s0, 0, s62
	s_mov_b32 s3, 0
	v_rcp_iflag_f32_e32 v1, v1
	v_mul_f32_e32 v1, 0x4f7ffffe, v1
	v_cvt_u32_f32_e32 v1, v1
	v_readfirstlane_b32 s1, v1
	s_mul_i32 s0, s0, s1
	s_mul_hi_u32 s0, s1, s0
	s_add_i32 s1, s1, s0
	s_mul_hi_u32 s0, s9, s1
	s_mul_i32 s2, s0, s62
	s_sub_i32 s2, s9, s2
	s_add_i32 s1, s0, 1
	s_sub_i32 s9, s2, s62
	s_cmp_ge_u32 s2, s62
	s_cselect_b32 s0, s1, s0
	s_cselect_b32 s2, s9, s2
	s_add_i32 s1, s0, 1
	s_cmp_ge_u32 s2, s62
	s_cselect_b32 s2, s1, s0
.LBB3_5:
	v_mov_b32_e32 v1, 0
	v_mov_b32_e32 v4, s6
	v_mad_u64_u32 v[10:11], s[0:1], s8, v4, v[0:1]
	s_add_u32 s0, s2, 1
	s_addc_u32 s1, s3, 0
	s_mul_hi_u32 s2, s7, s8
	s_mul_i32 s1, s33, s1
	s_mul_hi_u32 s3, s33, s0
	s_add_i32 s1, s3, s1
	s_mul_i32 s2, s2, s0
	s_add_i32 s1, s1, s2
	s_mul_i32 s0, s33, s0
	s_lshl_b64 s[26:27], s[0:1], 1
	v_cmp_gt_i64_e32 vcc, s[26:27], v[10:11]
	s_and_saveexec_b64 s[0:1], vcc
	s_cbranch_execz .LBB3_50
; %bb.6:
	s_mov_b32 s0, 0x5384540f
	v_mov_b32_e32 v0, v9
	v_add_co_u32_e32 v18, vcc, s0, v8
	s_mov_b32 s0, 0x646e171e
	v_add_co_u32_e32 v19, vcc, s0, v0
	s_mov_b32 s0, 0x1715609d
	v_add_co_u32_e32 v20, vcc, s0, v8
	s_mov_b32 s0, 0xed9eba14
	v_add_co_u32_e32 v21, vcc, s0, v0
	s_mov_b32 s0, 0xdaa66d2b
	v_add_co_u32_e32 v22, vcc, s0, v8
	s_mov_b32 s0, 0x76cf5d0a
	v_add_co_u32_e32 v23, vcc, s0, v0
	s_mov_b32 s0, 0x9e3779b9
	v_alignbit_b32 v25, v3, v2, 2
	s_mov_b32 s64, 0xd2511f53
	v_add_co_u32_e32 v24, vcc, s0, v8
	v_mad_u64_u32 v[4:5], s[0:1], v25, s64, 0
	v_xor_b32_e32 v1, v5, v9
	v_xor_b32_e32 v1, v1, v11
	s_mov_b32 s65, 0xcd9e8d57
	v_mad_u64_u32 v[6:7], s[0:1], v1, s65, 0
	v_xor_b32_e32 v1, v24, v7
	v_mad_u64_u32 v[12:13], s[0:1], v10, s65, 0
	v_and_b32_e32 v14, 3, v2
	v_xor_b32_e32 v1, v1, v12
	v_xor_b32_e32 v2, v8, v13
	v_lshrrev_b32_e32 v26, 2, v3
	v_mad_u64_u32 v[30:31], s[0:1], v1, s64, 0
	v_xor_b32_e32 v2, v2, v26
	v_xor_b32_e32 v1, v23, v31
	v_mad_u64_u32 v[2:3], s[0:1], v2, s64, 0
	v_xor_b32_e32 v1, v1, v2
	v_mad_u64_u32 v[12:13], s[0:1], v1, s65, 0
	s_mov_b32 s0, 0xbb67ae85
	v_add_co_u32_e32 v27, vcc, s0, v0
	v_xor_b32_e32 v2, v27, v3
	v_xor_b32_e32 v2, v2, v4
	v_xor_b32_e32 v1, v22, v13
	v_mad_u64_u32 v[2:3], s[0:1], v2, s65, 0
	v_xor_b32_e32 v1, v1, v2
	v_mad_u64_u32 v[4:5], s[0:1], v1, s64, 0
	s_mov_b32 s0, 0x3c6ef372
	v_add_co_u32_e32 v28, vcc, s0, v8
	v_xor_b32_e32 v2, v28, v3
	;; [unrolled: 8-line block ×6, first 2 shown]
	v_add_co_u32_e32 v17, vcc, 0xdb3d7428, v0
	v_xor_b32_e32 v2, v2, v6
	v_xor_b32_e32 v1, v17, v37
	v_mad_u64_u32 v[2:3], s[0:1], v2, s64, 0
	v_xor_b32_e32 v1, v1, v2
	v_mad_u64_u32 v[38:39], s[0:1], v1, s65, 0
	s_mov_b32 s0, 0x1fd5c5a3
	v_add_co_u32_e32 v33, vcc, s0, v0
	v_xor_b32_e32 v0, v33, v3
	v_xor_b32_e32 v0, v0, v34
	v_mad_u64_u32 v[0:1], s[0:1], v0, s65, 0
	s_mov_b32 s0, 0xf1bbcdc8
	s_load_dwordx8 s[8:15], s[4:5], 0x30
	v_add_u32_e32 v15, 0x8ff34781, v8
	v_xor_b32_e32 v0, v39, v0
	v_add_co_u32_e32 v34, vcc, s0, v8
	v_xor_b32_e32 v4, v15, v0
	v_xor_b32_e32 v0, v34, v1
	;; [unrolled: 1-line block ×3, first 2 shown]
	s_add_u32 s34, s4, 48
	v_mad_u64_u32 v[0:1], s[0:1], v0, s64, 0
	s_addc_u32 s35, s5, 0
	s_waitcnt lgkmcnt(0)
	s_add_i32 s0, s8, -1
	s_cmp_gt_u32 s0, 1
	s_cselect_b64 s[40:41], -1, 0
	s_cmp_lg_u32 s8, 0
	s_cselect_b64 s[42:43], -1, 0
	s_add_u32 s44, s4, 0xf4
	s_addc_u32 s45, s5, 0
	s_min_u32 s1, s0, 15
	s_cmp_gt_u32 s8, 1
	s_cselect_b64 s[46:47], -1, 0
	s_load_dwordx2 s[48:49], s[4:5], 0x148
	s_load_dwordx2 s[50:51], s[4:5], 0xf4
	s_load_dwordx4 s[28:31], s[4:5], 0x138
	s_add_i32 s1, s1, 1
	s_mov_b32 s8, s13
	s_and_b32 s13, s1, 3
	s_cmp_lg_u32 s0, 2
	s_cselect_b64 s[52:53], -1, 0
	s_and_b32 s15, s1, 28
	v_add_u32_e32 v16, 0x96a522ad, v9
	v_xor_b32_e32 v1, v1, v36
	s_cmp_lg_u32 s13, 0
	s_mov_b32 s63, 0
	v_xor_b32_e32 v6, v16, v1
	v_mov_b32_e32 v5, v38
	v_mov_b32_e32 v7, v0
	s_mov_b64 s[54:55], 0
	s_cselect_b64 s[56:57], -1, 0
	s_mov_b32 s66, 0x800000
	s_mov_b32 s67, 0x3f317217
	;; [unrolled: 1-line block ×4, first 2 shown]
	v_mov_b32_e32 v35, 0x260
	v_mov_b32_e32 v36, 0x4f800000
	;; [unrolled: 1-line block ×5, first 2 shown]
	s_branch .LBB3_9
.LBB3_7:                                ;   in Loop: Header=BB3_9 Depth=1
	v_mul_f32_e32 v3, 0.15915494, v3
	v_cos_f32_e32 v3, v3
	s_waitcnt lgkmcnt(0)
	v_pk_mov_b32 v[40:41], s[30:31], s[30:31] op_sel:[0,1]
	v_mul_f32_e32 v3, v3, v13
	v_cvt_f64_f32_e32 v[4:5], v3
	v_fma_f64 v[4:5], s[48:49], v[4:5], v[40:41]
	global_store_dwordx2 v6, v[4:5], s[28:29]
.LBB3_8:                                ;   in Loop: Header=BB3_9 Depth=1
	s_or_b64 exec, exec, s[36:37]
	v_add_co_u32_e32 v10, vcc, s62, v10
	v_mov_b32_e32 v3, v12
	v_addc_co_u32_e32 v11, vcc, 0, v11, vcc
	v_cmp_le_i64_e32 vcc, s[26:27], v[10:11]
	v_pk_mov_b32 v[6:7], v[2:3], v[2:3] op_sel:[0,1]
	s_or_b64 s[54:55], vcc, s[54:55]
	v_pk_mov_b32 v[4:5], v[0:1], v[0:1] op_sel:[0,1]
	s_waitcnt lgkmcnt(0)
	s_barrier
	s_andn2_b64 exec, exec, s[54:55]
	s_cbranch_execz .LBB3_50
.LBB3_9:                                ; =>This Loop Header: Depth=1
                                        ;     Child Loop BB3_24 Depth 2
                                        ;     Child Loop BB3_30 Depth 2
	;; [unrolled: 1-line block ×4, first 2 shown]
	v_add_co_u32_e32 v25, vcc, 1, v25
	v_cndmask_b32_e64 v0, 0, 1, vcc
	v_addc_co_u32_e32 v26, vcc, 0, v26, vcc
	v_cmp_eq_u32_e32 vcc, 0, v26
	v_cndmask_b32_e32 v0, 0, v0, vcc
	v_add_u32_e32 v38, v0, v38
	v_cmp_eq_u32_e32 vcc, 0, v38
	v_cndmask_b32_e32 v0, 0, v0, vcc
	v_add_u32_e32 v39, v0, v39
	v_mad_u64_u32 v[0:1], s[0:1], v25, s64, 0
	v_mad_u64_u32 v[2:3], s[0:1], v38, s65, 0
	v_xor_b32_e32 v1, v1, v9
	v_xor_b32_e32 v3, v3, v8
	v_xor_b32_e32 v1, v39, v1
	v_xor_b32_e32 v3, v26, v3
	v_mad_u64_u32 v[40:41], s[0:1], v1, s65, 0
	v_mad_u64_u32 v[12:13], s[0:1], v3, s64, 0
	v_xor_b32_e32 v1, v24, v41
	v_xor_b32_e32 v1, v1, v2
	v_xor_b32_e32 v2, v27, v13
	v_xor_b32_e32 v2, v2, v0
	;; [unrolled: 6-line block ×10, first 2 shown]
	v_mov_b32_e32 v1, v40
	v_cmp_lt_i32_e32 vcc, 1, v14
	s_and_saveexec_b64 s[0:1], vcc
	s_xor_b64 s[0:1], exec, s[0:1]
	s_cbranch_execz .LBB3_15
; %bb.10:                               ;   in Loop: Header=BB3_9 Depth=1
	v_cmp_lt_i32_e32 vcc, 2, v14
	s_and_saveexec_b64 s[2:3], vcc
	s_xor_b64 s[2:3], exec, s[2:3]
; %bb.11:                               ;   in Loop: Header=BB3_9 Depth=1
	v_mov_b32_e32 v4, v7
	v_mov_b32_e32 v5, v0
; %bb.12:                               ;   in Loop: Header=BB3_9 Depth=1
	s_andn2_saveexec_b64 s[2:3], s[2:3]
; %bb.13:                               ;   in Loop: Header=BB3_9 Depth=1
	v_mov_b32_e32 v4, v6
	v_mov_b32_e32 v5, v7
; %bb.14:                               ;   in Loop: Header=BB3_9 Depth=1
	s_or_b64 exec, exec, s[2:3]
.LBB3_15:                               ;   in Loop: Header=BB3_9 Depth=1
	s_andn2_saveexec_b64 s[0:1], s[0:1]
	s_cbranch_execz .LBB3_19
; %bb.16:                               ;   in Loop: Header=BB3_9 Depth=1
	v_cmp_eq_u32_e32 vcc, 1, v14
	s_and_saveexec_b64 s[2:3], vcc
; %bb.17:                               ;   in Loop: Header=BB3_9 Depth=1
	v_mov_b32_e32 v4, v5
	v_mov_b32_e32 v5, v6
; %bb.18:                               ;   in Loop: Header=BB3_9 Depth=1
	s_or_b64 exec, exec, s[2:3]
.LBB3_19:                               ;   in Loop: Header=BB3_9 Depth=1
	s_or_b64 exec, exec, s[0:1]
	v_cvt_f32_u32_e32 v3, v4
	v_mov_b32_e32 v4, 0x2f800000
	v_fmac_f32_e32 v4, 0x2f800000, v3
	v_cmp_gt_f32_e32 vcc, s66, v4
	v_cndmask_b32_e32 v3, 1.0, v36, vcc
	v_mul_f32_e32 v3, v4, v3
	v_log_f32_e32 v3, v3
	v_cvt_f32_u32_e32 v4, v5
	v_cndmask_b32_e32 v5, 0, v37, vcc
	v_mul_f32_e32 v6, 0x3f317217, v3
	v_fma_f32 v7, v3, s67, -v6
	v_fmac_f32_e32 v7, 0x3377d1cf, v3
	v_add_f32_e32 v6, v6, v7
	v_cmp_lt_f32_e64 vcc, |v3|, s68
	v_cndmask_b32_e32 v3, v3, v6, vcc
	v_sub_f32_e32 v3, v3, v5
	v_mul_f32_e32 v3, -2.0, v3
	v_mul_f32_e32 v5, 0x4f800000, v3
	v_cmp_gt_f32_e32 vcc, s69, v3
	v_cndmask_b32_e32 v5, v3, v5, vcc
	v_sqrt_f32_e32 v6, v5
	v_mov_b32_e32 v3, 0x30c90fdb
	v_fmac_f32_e32 v3, 0x30c90fdb, v4
	v_add_u32_e32 v4, -1, v6
	v_fma_f32 v7, -v4, v6, v5
	v_cmp_ge_f32_e64 s[0:1], 0, v7
	v_add_u32_e32 v7, 1, v6
	v_cndmask_b32_e64 v4, v6, v4, s[0:1]
	v_fma_f32 v6, -v7, v6, v5
	v_cmp_lt_f32_e64 s[0:1], 0, v6
	v_cndmask_b32_e64 v4, v4, v7, s[0:1]
	v_mul_f32_e32 v6, 0x37800000, v4
	v_cndmask_b32_e32 v4, v4, v6, vcc
	v_cmp_class_f32_e32 vcc, v5, v35
	v_cndmask_b32_e32 v13, v4, v5, vcc
	v_cndmask_b32_e64 v4, 0, 1, s[40:41]
	v_cmp_gt_i64_e32 vcc, s[24:25], v[10:11]
	v_cmp_ne_u32_e64 s[0:1], 1, v4
	s_and_saveexec_b64 s[2:3], vcc
	s_cbranch_execz .LBB3_35
; %bb.20:                               ;   in Loop: Header=BB3_9 Depth=1
	s_and_b64 vcc, exec, s[0:1]
	s_cbranch_vccnz .LBB3_26
; %bb.21:                               ;   in Loop: Header=BB3_9 Depth=1
	s_andn2_b64 vcc, exec, s[42:43]
	s_cbranch_vccnz .LBB3_27
; %bb.22:                               ;   in Loop: Header=BB3_9 Depth=1
	s_mov_b32 s6, 0
	s_andn2_b64 vcc, exec, s[52:53]
	v_mov_b32_e32 v4, 0
	s_cbranch_vccnz .LBB3_28
; %bb.23:                               ;   in Loop: Header=BB3_9 Depth=1
	s_mov_b32 s70, 0
	v_mov_b32_e32 v4, 0
	s_mov_b64 s[58:59], s[34:35]
	s_mov_b64 s[60:61], s[44:45]
	v_mov_b32_e32 v6, v10
.LBB3_24:                               ;   Parent Loop BB3_9 Depth=1
                                        ; =>  This Inner Loop Header: Depth=2
	s_load_dwordx8 s[16:23], s[58:59], 0x4
	s_load_dwordx4 s[4:7], s[58:59], 0x24
	s_load_dwordx4 s[36:39], s[60:61], 0x0
	s_add_u32 s58, s58, 48
	s_addc_u32 s59, s59, 0
	s_waitcnt lgkmcnt(0)
	v_mul_hi_u32 v5, s17, v6
	v_add_u32_e32 v5, v6, v5
	v_lshrrev_b32_e32 v5, s18, v5
	v_mul_lo_u32 v7, v5, s16
	v_mul_hi_u32 v40, s20, v5
	v_sub_u32_e32 v6, v6, v7
	v_add_u32_e32 v7, v5, v40
	v_lshrrev_b32_e32 v7, s21, v7
	v_mul_lo_u32 v40, v7, s19
	v_mul_hi_u32 v41, s23, v7
	v_sub_u32_e32 v5, v5, v40
	v_add_u32_e32 v40, v7, v41
	v_mul_lo_u32 v6, v6, s36
	v_mul_lo_u32 v5, v5, s37
	v_lshrrev_b32_e32 v40, s4, v40
	v_add3_u32 v4, v6, v4, v5
	v_mul_hi_u32 v6, s6, v40
	v_add_u32_e32 v6, v40, v6
	v_mul_lo_u32 v5, v40, s22
	v_lshrrev_b32_e32 v6, s7, v6
	s_add_i32 s70, s70, 4
	v_sub_u32_e32 v5, v7, v5
	v_mul_lo_u32 v7, v6, s5
	s_add_u32 s60, s60, 16
	v_sub_u32_e32 v7, v40, v7
	s_addc_u32 s61, s61, 0
	v_mul_lo_u32 v5, v5, s38
	v_mul_lo_u32 v7, v7, s39
	s_cmp_lg_u32 s15, s70
	v_add3_u32 v4, v5, v4, v7
	s_cbranch_scc1 .LBB3_24
; %bb.25:                               ;   in Loop: Header=BB3_9 Depth=1
	s_mov_b32 s6, s15
	s_andn2_b64 vcc, exec, s[56:57]
	s_cbranch_vccz .LBB3_29
	s_branch .LBB3_31
.LBB3_26:                               ;   in Loop: Header=BB3_9 Depth=1
                                        ; implicit-def: $vgpr4
	s_branch .LBB3_32
.LBB3_27:                               ;   in Loop: Header=BB3_9 Depth=1
	v_mov_b32_e32 v4, 0
	s_branch .LBB3_31
.LBB3_28:                               ;   in Loop: Header=BB3_9 Depth=1
	v_mov_b32_e32 v6, v10
	s_andn2_b64 vcc, exec, s[56:57]
	s_cbranch_vccnz .LBB3_31
.LBB3_29:                               ;   in Loop: Header=BB3_9 Depth=1
	s_lshl_b32 s4, s6, 2
	s_add_u32 s4, s44, s4
	s_addc_u32 s5, s45, 0
	s_mul_i32 s6, s6, 12
	s_add_u32 s6, s34, s6
	s_addc_u32 s7, s35, 0
	s_mov_b32 s16, s13
.LBB3_30:                               ;   Parent Loop BB3_9 Depth=1
                                        ; =>  This Inner Loop Header: Depth=2
	s_load_dwordx2 s[18:19], s[6:7], 0x4
	s_load_dword s17, s[6:7], 0xc
	s_load_dword s20, s[4:5], 0x0
	s_add_u32 s6, s6, 12
	s_addc_u32 s7, s7, 0
	s_waitcnt lgkmcnt(0)
	v_mul_hi_u32 v5, s19, v6
	v_add_u32_e32 v5, v6, v5
	v_lshrrev_b32_e32 v5, s17, v5
	s_add_u32 s4, s4, 4
	v_mul_lo_u32 v7, v5, s18
	s_addc_u32 s5, s5, 0
	s_add_i32 s16, s16, -1
	v_sub_u32_e32 v7, v6, v7
	s_cmp_lg_u32 s16, 0
	v_mov_b32_e32 v6, v5
	v_mad_u64_u32 v[4:5], s[18:19], v7, s20, v[4:5]
	s_cbranch_scc1 .LBB3_30
.LBB3_31:                               ;   in Loop: Header=BB3_9 Depth=1
	s_cbranch_execnz .LBB3_34
.LBB3_32:                               ;   in Loop: Header=BB3_9 Depth=1
	v_mul_hi_u32 v4, v10, s10
	v_add_u32_e32 v4, v4, v10
	v_lshrrev_b32_e32 v5, s11, v4
	v_mul_lo_u32 v4, v5, s9
	v_sub_u32_e32 v4, v10, v4
	s_andn2_b64 vcc, exec, s[46:47]
	s_waitcnt lgkmcnt(0)
	v_mul_lo_u32 v4, v4, s50
	s_cbranch_vccnz .LBB3_34
; %bb.33:                               ;   in Loop: Header=BB3_9 Depth=1
	v_mul_hi_u32 v6, s8, v5
	v_add_u32_e32 v6, v5, v6
	v_lshrrev_b32_e32 v6, s14, v6
	v_mul_lo_u32 v6, v6, s12
	v_sub_u32_e32 v5, v5, v6
	v_mad_u64_u32 v[4:5], s[4:5], v5, s51, v[4:5]
.LBB3_34:                               ;   in Loop: Header=BB3_9 Depth=1
	v_mul_f32_e32 v5, 0.15915494, v3
	v_sin_f32_e32 v5, v5
	s_waitcnt lgkmcnt(0)
	v_pk_mov_b32 v[40:41], s[30:31], s[30:31] op_sel:[0,1]
	v_mul_f32_e32 v5, v5, v13
	v_cvt_f64_f32_e32 v[6:7], v5
	v_fma_f64 v[6:7], s[48:49], v[6:7], v[40:41]
	global_store_dwordx2 v4, v[6:7], s[28:29]
.LBB3_35:                               ;   in Loop: Header=BB3_9 Depth=1
	s_or_b64 exec, exec, s[2:3]
	v_mov_b32_e32 v5, s63
	v_add_co_u32_e32 v4, vcc, s33, v10
	v_addc_co_u32_e32 v5, vcc, v11, v5, vcc
	v_cmp_gt_i64_e32 vcc, s[24:25], v[4:5]
	s_and_saveexec_b64 s[36:37], vcc
	s_cbranch_execz .LBB3_8
; %bb.36:                               ;   in Loop: Header=BB3_9 Depth=1
	s_and_b64 vcc, exec, s[0:1]
	s_cbranch_vccnz .LBB3_42
; %bb.37:                               ;   in Loop: Header=BB3_9 Depth=1
	s_andn2_b64 vcc, exec, s[42:43]
	s_cbranch_vccnz .LBB3_43
; %bb.38:                               ;   in Loop: Header=BB3_9 Depth=1
	s_mov_b32 s2, 0
	s_andn2_b64 vcc, exec, s[52:53]
	v_mov_b32_e32 v6, 0
	s_cbranch_vccnz .LBB3_44
; %bb.39:                               ;   in Loop: Header=BB3_9 Depth=1
	s_mov_b32 s60, 0
	v_mov_b32_e32 v6, 0
	s_mov_b64 s[38:39], s[34:35]
	s_mov_b64 s[58:59], s[44:45]
	v_mov_b32_e32 v5, v4
.LBB3_40:                               ;   Parent Loop BB3_9 Depth=1
                                        ; =>  This Inner Loop Header: Depth=2
	s_load_dwordx8 s[0:7], s[38:39], 0x4
	s_load_dwordx4 s[16:19], s[38:39], 0x24
	s_load_dwordx4 s[20:23], s[58:59], 0x0
	s_add_u32 s38, s38, 48
	s_addc_u32 s39, s39, 0
	s_waitcnt lgkmcnt(0)
	v_mul_hi_u32 v7, s1, v5
	v_add_u32_e32 v7, v5, v7
	v_lshrrev_b32_e32 v7, s2, v7
	v_mul_lo_u32 v40, v7, s0
	v_mul_hi_u32 v41, s4, v7
	v_sub_u32_e32 v5, v5, v40
	v_add_u32_e32 v40, v7, v41
	v_lshrrev_b32_e32 v40, s5, v40
	v_mul_lo_u32 v41, v40, s3
	v_mul_hi_u32 v42, s7, v40
	v_sub_u32_e32 v7, v7, v41
	v_add_u32_e32 v41, v40, v42
	v_mul_lo_u32 v5, v5, s20
	v_mul_lo_u32 v7, v7, s21
	v_lshrrev_b32_e32 v41, s16, v41
	v_add3_u32 v6, v5, v6, v7
	v_mul_lo_u32 v5, v41, s6
	v_mul_hi_u32 v7, s18, v41
	v_sub_u32_e32 v5, v40, v5
	v_add_u32_e32 v7, v41, v7
	v_mul_lo_u32 v40, v5, s22
	v_lshrrev_b32_e32 v5, s19, v7
	s_add_i32 s60, s60, 4
	v_mul_lo_u32 v7, v5, s17
	s_add_u32 s58, s58, 16
	v_sub_u32_e32 v7, v41, v7
	s_addc_u32 s59, s59, 0
	v_mul_lo_u32 v7, v7, s23
	s_cmp_eq_u32 s15, s60
	v_add3_u32 v6, v40, v6, v7
	s_cbranch_scc0 .LBB3_40
; %bb.41:                               ;   in Loop: Header=BB3_9 Depth=1
	s_mov_b32 s2, s15
	s_andn2_b64 vcc, exec, s[56:57]
	s_cbranch_vccz .LBB3_45
	s_branch .LBB3_47
.LBB3_42:                               ;   in Loop: Header=BB3_9 Depth=1
                                        ; implicit-def: $vgpr6
	s_branch .LBB3_48
.LBB3_43:                               ;   in Loop: Header=BB3_9 Depth=1
	v_mov_b32_e32 v6, 0
	s_branch .LBB3_47
.LBB3_44:                               ;   in Loop: Header=BB3_9 Depth=1
	v_mov_b32_e32 v5, v4
	s_andn2_b64 vcc, exec, s[56:57]
	s_cbranch_vccnz .LBB3_47
.LBB3_45:                               ;   in Loop: Header=BB3_9 Depth=1
	s_lshl_b32 s0, s2, 2
	s_add_u32 s0, s44, s0
	s_addc_u32 s1, s45, 0
	s_mul_i32 s2, s2, 12
	s_add_u32 s2, s34, s2
	s_addc_u32 s3, s35, 0
	s_mov_b32 s4, s13
.LBB3_46:                               ;   Parent Loop BB3_9 Depth=1
                                        ; =>  This Inner Loop Header: Depth=2
	s_load_dwordx2 s[6:7], s[2:3], 0x4
	s_load_dword s5, s[2:3], 0xc
	s_load_dword s16, s[0:1], 0x0
	s_add_u32 s2, s2, 12
	s_addc_u32 s3, s3, 0
	s_waitcnt lgkmcnt(0)
	v_mul_hi_u32 v7, s7, v5
	v_add_u32_e32 v7, v5, v7
	v_lshrrev_b32_e32 v7, s5, v7
	s_add_u32 s0, s0, 4
	v_mul_lo_u32 v40, v7, s6
	s_addc_u32 s1, s1, 0
	s_add_i32 s4, s4, -1
	v_sub_u32_e32 v40, v5, v40
	s_cmp_lg_u32 s4, 0
	v_mov_b32_e32 v5, v7
	v_mad_u64_u32 v[6:7], s[6:7], v40, s16, v[6:7]
	s_cbranch_scc1 .LBB3_46
.LBB3_47:                               ;   in Loop: Header=BB3_9 Depth=1
	s_cbranch_execnz .LBB3_7
.LBB3_48:                               ;   in Loop: Header=BB3_9 Depth=1
	v_mul_hi_u32 v5, v4, s10
	v_add_u32_e32 v5, v5, v4
	v_lshrrev_b32_e32 v5, s11, v5
	v_mul_lo_u32 v6, v5, s9
	v_sub_u32_e32 v4, v4, v6
	s_andn2_b64 vcc, exec, s[46:47]
	s_waitcnt lgkmcnt(0)
	v_mul_lo_u32 v6, v4, s50
	s_cbranch_vccnz .LBB3_7
; %bb.49:                               ;   in Loop: Header=BB3_9 Depth=1
	v_mul_hi_u32 v4, s8, v5
	v_add_u32_e32 v4, v5, v4
	v_lshrrev_b32_e32 v4, s14, v4
	v_mul_lo_u32 v4, v4, s12
	v_sub_u32_e32 v4, v5, v4
	v_mad_u64_u32 v[6:7], s[0:1], v4, s51, v[6:7]
	s_branch .LBB3_7
.LBB3_50:
	s_endpgm
.LBB3_51:
                                        ; implicit-def: $sgpr2_sgpr3
	s_andn2_b64 vcc, exec, s[0:1]
	s_cbranch_vccz .LBB3_4
	s_branch .LBB3_5
	.section	.rodata,"a",@progbits
	.p2align	6, 0x0
	.amdhsa_kernel _ZN2at6native12_GLOBAL__N_143distribution_elementwise_grid_stride_kernelIdLi2EZNS0_9templates4cuda20normal_and_transformIddPNS_17CUDAGeneratorImplEZZZNS4_13normal_kernelIS7_EEvRKNS_10TensorBaseEddT_ENKUlvE_clEvENKUlvE_clEvEUldE_EEvRNS_18TensorIteratorBaseET1_T2_EUlP25hiprandStatePhilox4_32_10E0_ZNS1_27distribution_nullary_kernelIdd15HIP_vector_typeIfLj4EES7_SM_SF_EEvSH_SJ_RKT3_T4_EUlidE0_EEvlNS_15PhiloxCudaStateESI_SJ_
		.amdhsa_group_segment_fixed_size 0
		.amdhsa_private_segment_fixed_size 0
		.amdhsa_kernarg_size 592
		.amdhsa_user_sgpr_count 6
		.amdhsa_user_sgpr_private_segment_buffer 1
		.amdhsa_user_sgpr_dispatch_ptr 0
		.amdhsa_user_sgpr_queue_ptr 0
		.amdhsa_user_sgpr_kernarg_segment_ptr 1
		.amdhsa_user_sgpr_dispatch_id 0
		.amdhsa_user_sgpr_flat_scratch_init 0
		.amdhsa_user_sgpr_kernarg_preload_length 0
		.amdhsa_user_sgpr_kernarg_preload_offset 0
		.amdhsa_user_sgpr_private_segment_size 0
		.amdhsa_uses_dynamic_stack 0
		.amdhsa_system_sgpr_private_segment_wavefront_offset 0
		.amdhsa_system_sgpr_workgroup_id_x 1
		.amdhsa_system_sgpr_workgroup_id_y 0
		.amdhsa_system_sgpr_workgroup_id_z 0
		.amdhsa_system_sgpr_workgroup_info 0
		.amdhsa_system_vgpr_workitem_id 0
		.amdhsa_next_free_vgpr 43
		.amdhsa_next_free_sgpr 71
		.amdhsa_accum_offset 44
		.amdhsa_reserve_vcc 1
		.amdhsa_reserve_flat_scratch 0
		.amdhsa_float_round_mode_32 0
		.amdhsa_float_round_mode_16_64 0
		.amdhsa_float_denorm_mode_32 3
		.amdhsa_float_denorm_mode_16_64 3
		.amdhsa_dx10_clamp 1
		.amdhsa_ieee_mode 1
		.amdhsa_fp16_overflow 0
		.amdhsa_tg_split 0
		.amdhsa_exception_fp_ieee_invalid_op 0
		.amdhsa_exception_fp_denorm_src 0
		.amdhsa_exception_fp_ieee_div_zero 0
		.amdhsa_exception_fp_ieee_overflow 0
		.amdhsa_exception_fp_ieee_underflow 0
		.amdhsa_exception_fp_ieee_inexact 0
		.amdhsa_exception_int_div_zero 0
	.end_amdhsa_kernel
	.section	.text._ZN2at6native12_GLOBAL__N_143distribution_elementwise_grid_stride_kernelIdLi2EZNS0_9templates4cuda20normal_and_transformIddPNS_17CUDAGeneratorImplEZZZNS4_13normal_kernelIS7_EEvRKNS_10TensorBaseEddT_ENKUlvE_clEvENKUlvE_clEvEUldE_EEvRNS_18TensorIteratorBaseET1_T2_EUlP25hiprandStatePhilox4_32_10E0_ZNS1_27distribution_nullary_kernelIdd15HIP_vector_typeIfLj4EES7_SM_SF_EEvSH_SJ_RKT3_T4_EUlidE0_EEvlNS_15PhiloxCudaStateESI_SJ_,"axG",@progbits,_ZN2at6native12_GLOBAL__N_143distribution_elementwise_grid_stride_kernelIdLi2EZNS0_9templates4cuda20normal_and_transformIddPNS_17CUDAGeneratorImplEZZZNS4_13normal_kernelIS7_EEvRKNS_10TensorBaseEddT_ENKUlvE_clEvENKUlvE_clEvEUldE_EEvRNS_18TensorIteratorBaseET1_T2_EUlP25hiprandStatePhilox4_32_10E0_ZNS1_27distribution_nullary_kernelIdd15HIP_vector_typeIfLj4EES7_SM_SF_EEvSH_SJ_RKT3_T4_EUlidE0_EEvlNS_15PhiloxCudaStateESI_SJ_,comdat
.Lfunc_end3:
	.size	_ZN2at6native12_GLOBAL__N_143distribution_elementwise_grid_stride_kernelIdLi2EZNS0_9templates4cuda20normal_and_transformIddPNS_17CUDAGeneratorImplEZZZNS4_13normal_kernelIS7_EEvRKNS_10TensorBaseEddT_ENKUlvE_clEvENKUlvE_clEvEUldE_EEvRNS_18TensorIteratorBaseET1_T2_EUlP25hiprandStatePhilox4_32_10E0_ZNS1_27distribution_nullary_kernelIdd15HIP_vector_typeIfLj4EES7_SM_SF_EEvSH_SJ_RKT3_T4_EUlidE0_EEvlNS_15PhiloxCudaStateESI_SJ_, .Lfunc_end3-_ZN2at6native12_GLOBAL__N_143distribution_elementwise_grid_stride_kernelIdLi2EZNS0_9templates4cuda20normal_and_transformIddPNS_17CUDAGeneratorImplEZZZNS4_13normal_kernelIS7_EEvRKNS_10TensorBaseEddT_ENKUlvE_clEvENKUlvE_clEvEUldE_EEvRNS_18TensorIteratorBaseET1_T2_EUlP25hiprandStatePhilox4_32_10E0_ZNS1_27distribution_nullary_kernelIdd15HIP_vector_typeIfLj4EES7_SM_SF_EEvSH_SJ_RKT3_T4_EUlidE0_EEvlNS_15PhiloxCudaStateESI_SJ_
                                        ; -- End function
	.section	.AMDGPU.csdata,"",@progbits
; Kernel info:
; codeLenInByte = 3492
; NumSgprs: 75
; NumVgprs: 43
; NumAgprs: 0
; TotalNumVgprs: 43
; ScratchSize: 0
; MemoryBound: 0
; FloatMode: 240
; IeeeMode: 1
; LDSByteSize: 0 bytes/workgroup (compile time only)
; SGPRBlocks: 9
; VGPRBlocks: 5
; NumSGPRsForWavesPerEU: 75
; NumVGPRsForWavesPerEU: 43
; AccumOffset: 44
; Occupancy: 8
; WaveLimiterHint : 1
; COMPUTE_PGM_RSRC2:SCRATCH_EN: 0
; COMPUTE_PGM_RSRC2:USER_SGPR: 6
; COMPUTE_PGM_RSRC2:TRAP_HANDLER: 0
; COMPUTE_PGM_RSRC2:TGID_X_EN: 1
; COMPUTE_PGM_RSRC2:TGID_Y_EN: 0
; COMPUTE_PGM_RSRC2:TGID_Z_EN: 0
; COMPUTE_PGM_RSRC2:TIDIG_COMP_CNT: 0
; COMPUTE_PGM_RSRC3_GFX90A:ACCUM_OFFSET: 10
; COMPUTE_PGM_RSRC3_GFX90A:TG_SPLIT: 0
	.section	.text._ZN2at6native12_GLOBAL__N_143distribution_elementwise_grid_stride_kernelIfLi4EZNS0_9templates4cuda20normal_and_transformIffPNS_17CUDAGeneratorImplEZZZNS4_13normal_kernelIS7_EEvRKNS_10TensorBaseEddT_ENKUlvE_clEvENKUlvE0_clEvEUlfE_EEvRNS_18TensorIteratorBaseET1_T2_EUlP25hiprandStatePhilox4_32_10E_ZNS1_27distribution_nullary_kernelIff15HIP_vector_typeIdLj2EES7_SM_SF_EEvSH_SJ_RKT3_T4_EUlifE_EEvlNS_15PhiloxCudaStateESI_SJ_,"axG",@progbits,_ZN2at6native12_GLOBAL__N_143distribution_elementwise_grid_stride_kernelIfLi4EZNS0_9templates4cuda20normal_and_transformIffPNS_17CUDAGeneratorImplEZZZNS4_13normal_kernelIS7_EEvRKNS_10TensorBaseEddT_ENKUlvE_clEvENKUlvE0_clEvEUlfE_EEvRNS_18TensorIteratorBaseET1_T2_EUlP25hiprandStatePhilox4_32_10E_ZNS1_27distribution_nullary_kernelIff15HIP_vector_typeIdLj2EES7_SM_SF_EEvSH_SJ_RKT3_T4_EUlifE_EEvlNS_15PhiloxCudaStateESI_SJ_,comdat
	.globl	_ZN2at6native12_GLOBAL__N_143distribution_elementwise_grid_stride_kernelIfLi4EZNS0_9templates4cuda20normal_and_transformIffPNS_17CUDAGeneratorImplEZZZNS4_13normal_kernelIS7_EEvRKNS_10TensorBaseEddT_ENKUlvE_clEvENKUlvE0_clEvEUlfE_EEvRNS_18TensorIteratorBaseET1_T2_EUlP25hiprandStatePhilox4_32_10E_ZNS1_27distribution_nullary_kernelIff15HIP_vector_typeIdLj2EES7_SM_SF_EEvSH_SJ_RKT3_T4_EUlifE_EEvlNS_15PhiloxCudaStateESI_SJ_ ; -- Begin function _ZN2at6native12_GLOBAL__N_143distribution_elementwise_grid_stride_kernelIfLi4EZNS0_9templates4cuda20normal_and_transformIffPNS_17CUDAGeneratorImplEZZZNS4_13normal_kernelIS7_EEvRKNS_10TensorBaseEddT_ENKUlvE_clEvENKUlvE0_clEvEUlfE_EEvRNS_18TensorIteratorBaseET1_T2_EUlP25hiprandStatePhilox4_32_10E_ZNS1_27distribution_nullary_kernelIff15HIP_vector_typeIdLj2EES7_SM_SF_EEvSH_SJ_RKT3_T4_EUlifE_EEvlNS_15PhiloxCudaStateESI_SJ_
	.p2align	8
	.type	_ZN2at6native12_GLOBAL__N_143distribution_elementwise_grid_stride_kernelIfLi4EZNS0_9templates4cuda20normal_and_transformIffPNS_17CUDAGeneratorImplEZZZNS4_13normal_kernelIS7_EEvRKNS_10TensorBaseEddT_ENKUlvE_clEvENKUlvE0_clEvEUlfE_EEvRNS_18TensorIteratorBaseET1_T2_EUlP25hiprandStatePhilox4_32_10E_ZNS1_27distribution_nullary_kernelIff15HIP_vector_typeIdLj2EES7_SM_SF_EEvSH_SJ_RKT3_T4_EUlifE_EEvlNS_15PhiloxCudaStateESI_SJ_,@function
_ZN2at6native12_GLOBAL__N_143distribution_elementwise_grid_stride_kernelIfLi4EZNS0_9templates4cuda20normal_and_transformIffPNS_17CUDAGeneratorImplEZZZNS4_13normal_kernelIS7_EEvRKNS_10TensorBaseEddT_ENKUlvE_clEvENKUlvE0_clEvEUlfE_EEvRNS_18TensorIteratorBaseET1_T2_EUlP25hiprandStatePhilox4_32_10E_ZNS1_27distribution_nullary_kernelIff15HIP_vector_typeIdLj2EES7_SM_SF_EEvSH_SJ_RKT3_T4_EUlifE_EEvlNS_15PhiloxCudaStateESI_SJ_: ; @_ZN2at6native12_GLOBAL__N_143distribution_elementwise_grid_stride_kernelIfLi4EZNS0_9templates4cuda20normal_and_transformIffPNS_17CUDAGeneratorImplEZZZNS4_13normal_kernelIS7_EEvRKNS_10TensorBaseEddT_ENKUlvE_clEvENKUlvE0_clEvEUlfE_EEvRNS_18TensorIteratorBaseET1_T2_EUlP25hiprandStatePhilox4_32_10E_ZNS1_27distribution_nullary_kernelIff15HIP_vector_typeIdLj2EES7_SM_SF_EEvSH_SJ_RKT3_T4_EUlifE_EEvlNS_15PhiloxCudaStateESI_SJ_
; %bb.0:
	s_load_dword s2, s[4:5], 0x20
	s_load_dwordx2 s[0:1], s[4:5], 0x10
	s_load_dwordx4 s[8:11], s[4:5], 0x0
	s_waitcnt lgkmcnt(0)
	s_bitcmp0_b32 s2, 0
	s_mov_b32 s2, 0
	v_pk_mov_b32 v[2:3], s[0:1], s[0:1] op_sel:[0,1]
	v_pk_mov_b32 v[12:13], s[10:11], s[10:11] op_sel:[0,1]
	s_cbranch_scc1 .LBB4_2
; %bb.1:
	v_pk_mov_b32 v[2:3], s[0:1], s[0:1] op_sel:[0,1]
	flat_load_dwordx2 v[2:3], v[2:3]
	v_pk_mov_b32 v[4:5], s[10:11], s[10:11] op_sel:[0,1]
	flat_load_dwordx2 v[12:13], v[4:5]
	s_load_dwordx2 s[0:1], s[4:5], 0x18
	s_waitcnt lgkmcnt(0)
	v_mov_b32_e32 v1, s1
	s_waitcnt vmcnt(0)
	v_add_co_u32_e32 v2, vcc, s0, v2
	v_addc_co_u32_e32 v3, vcc, v3, v1, vcc
.LBB4_2:
	s_load_dword s0, s[4:5], 0x54
	s_load_dword s18, s[4:5], 0x48
	s_waitcnt lgkmcnt(0)
	s_and_b32 s7, s0, 0xffff
	s_add_u32 s10, s8, -1
	s_mul_i32 s33, s18, s7
	s_addc_u32 s3, s9, -1
	s_lshl_b32 s38, s33, 2
	s_cmp_lg_u64 s[2:3], 0
	s_mov_b64 s[0:1], -1
	s_cbranch_scc0 .LBB4_23
; %bb.3:
	v_cvt_f32_u32_e32 v1, s38
	v_cvt_f32_ubyte0_e32 v4, 0
	s_sub_u32 s2, 0, s38
	s_subb_u32 s11, 0, 0
	v_madmk_f32 v1, v4, 0x4f800000, v1
	v_rcp_f32_e32 v1, v1
	v_mul_f32_e32 v1, 0x5f7ffffc, v1
	v_mul_f32_e32 v4, 0x2f800000, v1
	v_trunc_f32_e32 v4, v4
	v_madmk_f32 v1, v4, 0xcf800000, v1
	v_cvt_u32_f32_e32 v4, v4
	v_cvt_u32_f32_e32 v1, v1
	v_readfirstlane_b32 s12, v4
	v_readfirstlane_b32 s13, v1
	s_mul_i32 s14, s2, s12
	s_mul_hi_u32 s16, s2, s13
	s_mul_i32 s15, s11, s13
	s_add_i32 s14, s16, s14
	s_add_i32 s14, s14, s15
	s_mul_i32 s17, s2, s13
	s_mul_hi_u32 s15, s13, s14
	s_mul_i32 s16, s13, s14
	s_mul_hi_u32 s13, s13, s17
	s_add_u32 s13, s13, s16
	s_addc_u32 s15, 0, s15
	s_mul_hi_u32 s19, s12, s17
	s_mul_i32 s17, s12, s17
	s_add_u32 s13, s13, s17
	s_mul_hi_u32 s16, s12, s14
	s_addc_u32 s13, s15, s19
	s_addc_u32 s15, s16, 0
	s_mul_i32 s14, s12, s14
	s_add_u32 s13, s13, s14
	s_addc_u32 s14, 0, s15
	v_add_co_u32_e32 v1, vcc, s13, v1
	s_cmp_lg_u64 vcc, 0
	s_addc_u32 s12, s12, s14
	v_readfirstlane_b32 s14, v1
	s_mul_i32 s13, s2, s12
	s_mul_hi_u32 s15, s2, s14
	s_add_i32 s13, s15, s13
	s_mul_i32 s11, s11, s14
	s_add_i32 s13, s13, s11
	s_mul_i32 s2, s2, s14
	s_mul_hi_u32 s15, s12, s2
	s_mul_i32 s16, s12, s2
	s_mul_i32 s19, s14, s13
	s_mul_hi_u32 s2, s14, s2
	s_mul_hi_u32 s17, s14, s13
	s_add_u32 s2, s2, s19
	s_addc_u32 s14, 0, s17
	s_add_u32 s2, s2, s16
	s_mul_hi_u32 s11, s12, s13
	s_addc_u32 s2, s14, s15
	s_addc_u32 s11, s11, 0
	s_mul_i32 s13, s12, s13
	s_add_u32 s2, s2, s13
	s_addc_u32 s11, 0, s11
	v_add_co_u32_e32 v1, vcc, s2, v1
	s_cmp_lg_u64 vcc, 0
	s_addc_u32 s11, s12, s11
	s_ashr_i32 s12, s3, 31
	s_add_u32 s2, s10, s12
	s_mov_b32 s13, s12
	s_addc_u32 s3, s3, s12
	s_xor_b64 s[2:3], s[2:3], s[12:13]
	v_readfirstlane_b32 s16, v1
	s_mul_i32 s15, s2, s11
	s_mul_hi_u32 s17, s2, s16
	s_mul_hi_u32 s14, s2, s11
	s_add_u32 s15, s17, s15
	s_addc_u32 s14, 0, s14
	s_mul_hi_u32 s19, s3, s16
	s_mul_i32 s16, s3, s16
	s_add_u32 s15, s15, s16
	s_mul_hi_u32 s17, s3, s11
	s_addc_u32 s14, s14, s19
	s_addc_u32 s15, s17, 0
	s_mul_i32 s11, s3, s11
	s_add_u32 s11, s14, s11
	s_addc_u32 s14, 0, s15
	s_add_u32 s15, s11, 1
	s_addc_u32 s16, s14, 0
	s_add_u32 s17, s11, 2
	s_mul_i32 s20, s38, s14
	s_mul_hi_u32 s21, s38, s11
	s_addc_u32 s19, s14, 0
	s_add_i32 s21, s21, s20
	s_mul_i32 s20, s38, s11
	v_mov_b32_e32 v1, s20
	v_sub_co_u32_e32 v1, vcc, s2, v1
	s_cmp_lg_u64 vcc, 0
	s_subb_u32 s2, s3, s21
	v_subrev_co_u32_e32 v4, vcc, s38, v1
	s_cmp_lg_u64 vcc, 0
	s_subb_u32 s3, s2, 0
	v_readfirstlane_b32 s20, v4
	s_cmp_ge_u32 s20, s38
	s_cselect_b32 s20, -1, 0
	s_cmp_eq_u32 s3, 0
	s_cselect_b32 s3, s20, -1
	s_cmp_lg_u32 s3, 0
	s_cselect_b32 s3, s19, s16
	v_readfirstlane_b32 s16, v1
	s_cselect_b32 s15, s17, s15
	s_cmp_ge_u32 s16, s38
	s_cselect_b32 s16, -1, 0
	s_cmp_eq_u32 s2, 0
	s_cselect_b32 s2, s16, -1
	s_cmp_lg_u32 s2, 0
	s_cselect_b32 s3, s3, s14
	s_cselect_b32 s2, s15, s11
	s_xor_b64 s[2:3], s[2:3], s[12:13]
	s_sub_u32 s2, s2, s12
	s_subb_u32 s3, s3, s12
	s_cbranch_execnz .LBB4_5
.LBB4_4:
	v_cvt_f32_u32_e32 v1, s38
	s_sub_i32 s0, 0, s38
	s_mov_b32 s3, 0
	v_rcp_iflag_f32_e32 v1, v1
	v_mul_f32_e32 v1, 0x4f7ffffe, v1
	v_cvt_u32_f32_e32 v1, v1
	v_readfirstlane_b32 s1, v1
	s_mul_i32 s0, s0, s1
	s_mul_hi_u32 s0, s1, s0
	s_add_i32 s1, s1, s0
	s_mul_hi_u32 s0, s10, s1
	s_mul_i32 s2, s0, s38
	s_sub_i32 s2, s10, s2
	s_add_i32 s1, s0, 1
	s_sub_i32 s10, s2, s38
	s_cmp_ge_u32 s2, s38
	s_cselect_b32 s0, s1, s0
	s_cselect_b32 s2, s10, s2
	s_add_i32 s1, s0, 1
	s_cmp_ge_u32 s2, s38
	s_cselect_b32 s2, s1, s0
.LBB4_5:
	v_mov_b32_e32 v1, 0
	v_mov_b32_e32 v4, s6
	v_mad_u64_u32 v[14:15], s[0:1], s7, v4, v[0:1]
	s_add_u32 s0, s2, 1
	s_addc_u32 s1, s3, 0
	s_mul_hi_u32 s2, s18, s7
	s_mul_i32 s1, s33, s1
	s_mul_hi_u32 s3, s33, s0
	s_add_i32 s1, s3, s1
	s_mul_i32 s2, s2, s0
	s_add_i32 s1, s1, s2
	s_mul_i32 s0, s33, s0
	s_lshl_b64 s[10:11], s[0:1], 2
	v_cmp_gt_i64_e32 vcc, s[10:11], v[14:15]
	s_and_saveexec_b64 s[0:1], vcc
	s_cbranch_execz .LBB4_22
; %bb.6:
	s_mov_b32 s0, 0x5384540f
	v_mov_b32_e32 v4, v13
	v_add_co_u32_e32 v58, vcc, s0, v12
	s_mov_b32 s0, 0x646e171e
	v_add_co_u32_e32 v59, vcc, s0, v4
	s_mov_b32 s0, 0x1715609d
	;; [unrolled: 2-line block ×6, first 2 shown]
	v_alignbit_b32 v65, v3, v2, 2
	s_mov_b32 s39, 0xd2511f53
	v_add_co_u32_e32 v64, vcc, s0, v12
	v_mad_u64_u32 v[6:7], s[0:1], v65, s39, 0
	v_and_b32_e32 v54, 3, v2
	v_xor_b32_e32 v2, v7, v13
	v_xor_b32_e32 v2, v2, v15
	s_mov_b32 s40, 0xcd9e8d57
	v_mad_u64_u32 v[8:9], s[0:1], v2, s40, 0
	v_xor_b32_e32 v2, v64, v9
	v_mad_u64_u32 v[10:11], s[0:1], v14, s40, 0
	v_xor_b32_e32 v2, v2, v10
	v_mad_u64_u32 v[16:17], s[0:1], v2, s39, 0
	v_xor_b32_e32 v2, v12, v11
	v_lshrrev_b32_e32 v66, 2, v3
	v_xor_b32_e32 v2, v2, v66
	v_xor_b32_e32 v5, v63, v17
	v_mad_u64_u32 v[2:3], s[0:1], v2, s39, 0
	v_xor_b32_e32 v2, v5, v2
	v_mad_u64_u32 v[10:11], s[0:1], v2, s40, 0
	s_mov_b32 s0, 0xbb67ae85
	v_add_co_u32_e32 v67, vcc, s0, v4
	v_xor_b32_e32 v2, v67, v3
	v_xor_b32_e32 v2, v2, v6
	v_xor_b32_e32 v5, v62, v11
	v_mad_u64_u32 v[2:3], s[0:1], v2, s40, 0
	v_xor_b32_e32 v2, v5, v2
	v_mad_u64_u32 v[6:7], s[0:1], v2, s39, 0
	s_mov_b32 s0, 0x3c6ef372
	v_add_co_u32_e32 v68, vcc, s0, v12
	v_xor_b32_e32 v2, v68, v3
	;; [unrolled: 8-line block ×6, first 2 shown]
	v_add_co_u32_e32 v57, vcc, 0xdb3d7428, v4
	v_xor_b32_e32 v2, v2, v8
	v_xor_b32_e32 v5, v57, v19
	v_mad_u64_u32 v[2:3], s[0:1], v2, s39, 0
	v_xor_b32_e32 v2, v5, v2
	v_mad_u64_u32 v[20:21], s[0:1], v2, s40, 0
	s_mov_b32 s0, 0x1fd5c5a3
	v_add_co_u32_e32 v73, vcc, s0, v4
	v_xor_b32_e32 v2, v73, v3
	v_xor_b32_e32 v2, v2, v16
	v_mad_u64_u32 v[2:3], s[0:1], v2, s40, 0
	s_mov_b32 s0, 0xf1bbcdc8
	v_add_u32_e32 v55, 0x8ff34781, v12
	v_xor_b32_e32 v2, v21, v2
	v_add_co_u32_e32 v74, vcc, s0, v12
	s_load_dwordx4 s[12:15], s[4:5], 0x38
	s_load_dwordx2 s[16:17], s[4:5], 0x30
	v_xor_b32_e32 v6, v55, v2
	v_xor_b32_e32 v2, v74, v3
	;; [unrolled: 1-line block ×3, first 2 shown]
	v_mad_u64_u32 v[2:3], s[0:1], v2, s39, 0
	s_mul_i32 s0, s6, s7
	v_mov_b32_e32 v9, v2
	v_add_u32_e32 v2, s0, v0
	s_waitcnt lgkmcnt(0)
	s_mul_i32 s0, s18, s12
	s_mul_i32 s0, s0, s7
	s_lshl_b32 s41, s0, 2
	s_add_i32 s0, s6, s18
	s_mul_i32 s0, s0, s7
	s_mov_b32 s15, 0
	v_add_u32_e32 v56, 0x96a522ad, v13
	v_xor_b32_e32 v3, v3, v18
	v_add_u32_e32 v0, s0, v0
	s_mov_b32 s6, 0x55555555
	s_mov_b32 s18, 0xbf559e2b
	s_mov_b32 s20, 0xfefa39ef
	s_mov_b32 s22, 0x3b39803f
	s_mov_b32 s24, 0
	s_mov_b32 s26, 0
	s_mov_b32 s28, 0xf99eb0bb
	s_mov_b32 s30, 0x54442d18
	s_mov_b32 s34, 0x2e21c33
	v_xor_b32_e32 v8, v56, v3
	v_mov_b32_e32 v7, v20
	v_mul_lo_u32 v75, s12, v2
	v_mul_lo_u32 v76, s12, v0
	s_mov_b64 s[4:5], 0
	s_mov_b32 s7, 0x3fe55555
	s_mov_b32 s19, 0x3fc3ab76
	;; [unrolled: 1-line block ×5, first 2 shown]
	s_brev_b32 s27, 8
	s_mov_b32 s29, 0x3f3e357e
	s_mov_b32 s31, 0x400921fb
	;; [unrolled: 1-line block ×3, first 2 shown]
	v_mov_b32_e32 v16, 0x6b47b09a
	v_mov_b32_e32 v17, 0x3fc38538
	;; [unrolled: 1-line block ×34, first 2 shown]
	s_mov_b32 s12, s15
	v_mov_b32_e32 v77, 0x260
	v_mov_b32_e32 v78, 0x7ff00000
	;; [unrolled: 1-line block ×6, first 2 shown]
	s_branch .LBB4_8
.LBB4_7:                                ;   in Loop: Header=BB4_8 Depth=1
	s_or_b64 exec, exec, s[36:37]
	v_add_co_u32_e32 v14, vcc, s38, v14
	v_mov_b32_e32 v5, v50
	v_addc_co_u32_e32 v15, vcc, 0, v15, vcc
	s_add_i32 s12, s12, s41
	v_cmp_le_i64_e32 vcc, s[10:11], v[14:15]
	v_pk_mov_b32 v[8:9], v[4:5], v[4:5] op_sel:[0,1]
	s_or_b64 s[4:5], vcc, s[4:5]
	v_pk_mov_b32 v[6:7], v[2:3], v[2:3] op_sel:[0,1]
	s_barrier
	s_andn2_b64 exec, exec, s[4:5]
	s_cbranch_execz .LBB4_22
.LBB4_8:                                ; =>This Inner Loop Header: Depth=1
	v_add_co_u32_e32 v65, vcc, 1, v65
	v_cndmask_b32_e64 v0, 0, 1, vcc
	v_addc_co_u32_e32 v66, vcc, 0, v66, vcc
	v_cmp_eq_u32_e32 vcc, 0, v66
	v_cndmask_b32_e32 v0, 0, v0, vcc
	v_add_u32_e32 v81, v0, v81
	v_cmp_eq_u32_e32 vcc, 0, v81
	v_cndmask_b32_e32 v0, 0, v0, vcc
	v_mad_u64_u32 v[2:3], s[0:1], v65, s39, 0
	v_mad_u64_u32 v[4:5], s[0:1], v81, s40, 0
	v_add_u32_e32 v82, v0, v82
	v_xor_b32_e32 v0, v5, v12
	v_xor_b32_e32 v3, v3, v13
	v_xor_b32_e32 v0, v66, v0
	v_xor_b32_e32 v3, v82, v3
	v_mad_u64_u32 v[10:11], s[0:1], v0, s39, 0
	v_mad_u64_u32 v[50:51], s[0:1], v3, s40, 0
	v_xor_b32_e32 v0, v64, v51
	v_xor_b32_e32 v3, v67, v11
	v_xor_b32_e32 v0, v0, v4
	v_xor_b32_e32 v4, v3, v2
	v_mad_u64_u32 v[2:3], s[0:1], v0, s39, 0
	v_mad_u64_u32 v[4:5], s[0:1], v4, s40, 0
	;; [unrolled: 6-line block ×9, first 2 shown]
	v_xor_b32_e32 v0, v11, v2
	v_xor_b32_e32 v2, v55, v0
	;; [unrolled: 1-line block ×4, first 2 shown]
	v_mov_b32_e32 v3, v10
	v_mov_b32_e32 v4, v11
	v_cmp_lt_i32_e32 vcc, 1, v54
	s_and_saveexec_b64 s[0:1], vcc
	s_xor_b64 s[0:1], exec, s[0:1]
	s_cbranch_execz .LBB4_14
; %bb.9:                                ;   in Loop: Header=BB4_8 Depth=1
	v_cmp_lt_i32_e32 vcc, 2, v54
	s_and_saveexec_b64 s[2:3], vcc
	s_xor_b64 s[2:3], exec, s[2:3]
; %bb.10:                               ;   in Loop: Header=BB4_8 Depth=1
	v_mov_b32_e32 v8, v9
	v_mov_b32_e32 v9, v2
	v_pk_mov_b32 v[6:7], v[8:9], v[8:9] op_sel:[0,1]
	v_pk_mov_b32 v[8:9], v[10:11], v[10:11] op_sel:[0,1]
                                        ; implicit-def: $vgpr10_vgpr11
; %bb.11:                               ;   in Loop: Header=BB4_8 Depth=1
	s_andn2_saveexec_b64 s[2:3], s[2:3]
; %bb.12:                               ;   in Loop: Header=BB4_8 Depth=1
	v_mov_b32_e32 v6, v8
	v_mov_b32_e32 v7, v9
	v_mov_b32_e32 v8, v2
	v_mov_b32_e32 v9, v10
; %bb.13:                               ;   in Loop: Header=BB4_8 Depth=1
	s_or_b64 exec, exec, s[2:3]
.LBB4_14:                               ;   in Loop: Header=BB4_8 Depth=1
	s_andn2_saveexec_b64 s[0:1], s[0:1]
	s_cbranch_execz .LBB4_18
; %bb.15:                               ;   in Loop: Header=BB4_8 Depth=1
	v_cmp_eq_u32_e32 vcc, 1, v54
	s_and_saveexec_b64 s[2:3], vcc
; %bb.16:                               ;   in Loop: Header=BB4_8 Depth=1
	v_mov_b32_e32 v6, v7
	v_mov_b32_e32 v7, v8
	;; [unrolled: 1-line block ×4, first 2 shown]
; %bb.17:                               ;   in Loop: Header=BB4_8 Depth=1
	s_or_b64 exec, exec, s[2:3]
.LBB4_18:                               ;   in Loop: Header=BB4_8 Depth=1
	s_or_b64 exec, exec, s[0:1]
	v_mov_b32_e32 v0, v7
	v_lshlrev_b64 v[10:11], 21, v[0:1]
	v_xor_b32_e32 v0, v10, v6
	v_cvt_f64_u32_e32 v[6:7], v11
	v_ldexp_f64 v[6:7], v[6:7], 32
	v_cvt_f64_u32_e32 v[10:11], v0
	v_add_f64 v[6:7], v[6:7], v[10:11]
	v_mov_b32_e32 v10, 0
	v_mov_b32_e32 v11, 0x3ca00000
	v_fmac_f64_e32 v[10:11], 0x3ca00000, v[6:7]
	v_frexp_mant_f64_e32 v[52:53], v[10:11]
	v_cmp_gt_f64_e32 vcc, s[6:7], v[52:53]
	v_mov_b32_e32 v5, 0x3ff00000
	v_cndmask_b32_e64 v85, v5, 2.0, vcc
	v_mov_b32_e32 v84, v1
	v_mul_f64 v[52:53], v[52:53], v[84:85]
	v_add_f64 v[84:85], v[52:53], 1.0
	v_rcp_f64_e32 v[86:87], v[84:85]
	v_add_f64 v[90:91], v[84:85], -1.0
	v_add_f64 v[88:89], v[52:53], -1.0
	v_add_f64 v[52:53], v[52:53], -v[90:91]
	v_fma_f64 v[90:91], -v[84:85], v[86:87], 1.0
	v_fmac_f64_e32 v[86:87], v[90:91], v[86:87]
	v_fma_f64 v[90:91], -v[84:85], v[86:87], 1.0
	v_fmac_f64_e32 v[86:87], v[90:91], v[86:87]
	v_mul_f64 v[90:91], v[88:89], v[86:87]
	v_mul_f64 v[92:93], v[84:85], v[90:91]
	v_fma_f64 v[84:85], v[90:91], v[84:85], -v[92:93]
	v_fmac_f64_e32 v[84:85], v[90:91], v[52:53]
	v_add_f64 v[52:53], v[92:93], v[84:85]
	v_add_f64 v[94:95], v[88:89], -v[52:53]
	v_add_f64 v[92:93], v[52:53], -v[92:93]
	;; [unrolled: 1-line block ×5, first 2 shown]
	v_add_f64 v[52:53], v[84:85], v[52:53]
	v_add_f64 v[52:53], v[94:95], v[52:53]
	v_mul_f64 v[52:53], v[86:87], v[52:53]
	v_add_f64 v[84:85], v[90:91], v[52:53]
	v_add_f64 v[86:87], v[84:85], -v[90:91]
	v_add_f64 v[52:53], v[52:53], -v[86:87]
	v_mul_f64 v[86:87], v[84:85], v[84:85]
	v_pk_mov_b32 v[88:89], v[16:17], v[16:17] op_sel:[0,1]
	v_fmac_f64_e32 v[88:89], s[18:19], v[86:87]
	v_pk_mov_b32 v[90:91], v[18:19], v[18:19] op_sel:[0,1]
	v_fmac_f64_e32 v[90:91], v[86:87], v[88:89]
	;; [unrolled: 2-line block ×6, first 2 shown]
	v_ldexp_f64 v[88:89], v[84:85], 1
	v_mul_f64 v[84:85], v[84:85], v[86:87]
	v_mul_f64 v[84:85], v[84:85], v[90:91]
	v_add_f64 v[86:87], v[88:89], v[84:85]
	v_mov_b32_e32 v0, v9
	v_add_f64 v[88:89], v[86:87], -v[88:89]
	v_lshlrev_b64 v[6:7], 21, v[0:1]
	v_ldexp_f64 v[52:53], v[52:53], 1
	v_add_f64 v[84:85], v[84:85], -v[88:89]
	v_xor_b32_e32 v0, v6, v8
	v_add_f64 v[52:53], v[52:53], v[84:85]
	v_cvt_f64_u32_e32 v[8:9], v0
	v_frexp_exp_i32_f64_e32 v0, v[10:11]
	v_add_f64 v[84:85], v[86:87], v[52:53]
	v_subbrev_co_u32_e32 v0, vcc, 0, v0, vcc
	v_add_f64 v[86:87], v[84:85], -v[86:87]
	v_add_f64 v[52:53], v[52:53], -v[86:87]
	v_cvt_f64_i32_e32 v[86:87], v0
	v_mul_f64 v[88:89], v[86:87], s[20:21]
	v_fma_f64 v[90:91], v[86:87], s[20:21], -v[88:89]
	v_fmac_f64_e32 v[90:91], s[22:23], v[86:87]
	v_add_f64 v[86:87], v[88:89], v[90:91]
	v_add_f64 v[88:89], v[86:87], -v[88:89]
	v_add_f64 v[88:89], v[90:91], -v[88:89]
	v_add_f64 v[90:91], v[86:87], v[84:85]
	v_add_f64 v[92:93], v[90:91], -v[86:87]
	v_add_f64 v[94:95], v[90:91], -v[92:93]
	;; [unrolled: 1-line block ×4, first 2 shown]
	v_add_f64 v[84:85], v[84:85], v[86:87]
	v_add_f64 v[86:87], v[88:89], v[52:53]
	v_add_f64 v[92:93], v[86:87], -v[88:89]
	v_add_f64 v[94:95], v[86:87], -v[92:93]
	v_add_f64 v[84:85], v[86:87], v[84:85]
	v_add_f64 v[88:89], v[88:89], -v[94:95]
	v_add_f64 v[52:53], v[52:53], -v[92:93]
	v_add_f64 v[86:87], v[90:91], v[84:85]
	v_add_f64 v[52:53], v[52:53], v[88:89]
	v_add_f64 v[88:89], v[86:87], -v[90:91]
	v_add_f64 v[84:85], v[84:85], -v[88:89]
	v_add_f64 v[52:53], v[52:53], v[84:85]
	v_add_f64 v[52:53], v[86:87], v[52:53]
	v_cmp_eq_f64_e32 vcc, s[24:25], v[10:11]
	v_cndmask_b32_e32 v53, v53, v11, vcc
	v_cndmask_b32_e32 v52, v52, v10, vcc
	v_mul_f64 v[52:53], v[52:53], -2.0
	v_cmp_neq_f64_e32 vcc, 0, v[10:11]
	v_cndmask_b32_e32 v11, v78, v53, vcc
	v_cndmask_b32_e32 v10, 0, v52, vcc
	v_cmp_gt_f64_e32 vcc, s[26:27], v[10:11]
	v_cndmask_b32_e64 v0, 0, 1, vcc
	v_lshlrev_b32_e32 v0, 8, v0
	v_ldexp_f64 v[10:11], v[10:11], v0
	v_cvt_f64_u32_e32 v[6:7], v7
	v_rsq_f64_e32 v[52:53], v[10:11]
	v_ldexp_f64 v[6:7], v[6:7], 32
	v_add_f64 v[6:7], v[6:7], v[8:9]
	v_mov_b32_e32 v8, 0
	v_mov_b32_e32 v9, 0x3cb00000
	v_fmac_f64_e32 v[8:9], 0x3cb00000, v[6:7]
	v_mul_f64 v[6:7], v[10:11], v[52:53]
	v_mul_f64 v[52:53], v[52:53], 0.5
	v_fma_f64 v[84:85], -v[52:53], v[6:7], 0.5
	v_fmac_f64_e32 v[6:7], v[6:7], v[84:85]
	v_fma_f64 v[86:87], -v[6:7], v[6:7], v[10:11]
	v_fmac_f64_e32 v[52:53], v[52:53], v[84:85]
	v_fmac_f64_e32 v[6:7], v[86:87], v[52:53]
	v_fma_f64 v[84:85], -v[6:7], v[6:7], v[10:11]
	v_fmac_f64_e32 v[6:7], v[84:85], v[52:53]
	v_cndmask_b32_e32 v0, 0, v79, vcc
	v_ldexp_f64 v[6:7], v[6:7], v0
	v_cmp_class_f64_e32 vcc, v[10:11], v77
	v_cndmask_b32_e32 v7, v7, v11, vcc
	v_cndmask_b32_e32 v6, v6, v10, vcc
	v_mul_f64 v[10:11], v[8:9], 0.5
	v_fract_f64_e32 v[52:53], v[10:11]
	v_add_f64 v[52:53], v[52:53], v[52:53]
	v_cmp_neq_f64_e32 vcc, s[24:25], v[10:11]
	v_cndmask_b32_e32 v0, 0, v52, vcc
	v_cndmask_b32_e32 v5, 0, v53, vcc
	v_cmp_lt_f64_e32 vcc, 1.0, v[8:9]
	v_cndmask_b32_e32 v53, v9, v5, vcc
	v_cndmask_b32_e32 v52, v8, v0, vcc
	v_add_f64 v[10:11], v[52:53], v[52:53]
	v_rndne_f64_e32 v[10:11], v[10:11]
	v_fmac_f64_e32 v[52:53], -0.5, v[10:11]
	v_cvt_i32_f64_e32 v5, v[10:11]
	v_mul_f64 v[84:85], v[52:53], v[52:53]
	v_pk_mov_b32 v[10:11], v[28:29], v[28:29] op_sel:[0,1]
	v_fmac_f64_e32 v[10:11], s[28:29], v[84:85]
	v_pk_mov_b32 v[86:87], v[30:31], v[30:31] op_sel:[0,1]
	v_fmac_f64_e32 v[86:87], v[84:85], v[10:11]
	;; [unrolled: 2-line block ×5, first 2 shown]
	v_mul_f64 v[86:87], v[52:53], v[84:85]
	v_mul_f64 v[10:11], v[86:87], v[10:11]
	v_fmac_f64_e32 v[10:11], s[30:31], v[52:53]
	v_pk_mov_b32 v[52:53], v[38:39], v[38:39] op_sel:[0,1]
	v_fmac_f64_e32 v[52:53], s[34:35], v[84:85]
	v_pk_mov_b32 v[86:87], v[40:41], v[40:41] op_sel:[0,1]
	;; [unrolled: 2-line block ×6, first 2 shown]
	v_fmac_f64_e32 v[86:87], v[84:85], v[52:53]
	v_lshlrev_b32_e32 v0, 30, v5
	v_and_b32_e32 v5, 1, v5
	v_fma_f64 v[52:53], v[84:85], v[86:87], 1.0
	v_cmp_eq_u32_e64 s[0:1], 0, v5
	v_cmp_lg_f64_e32 vcc, s[24:25], v[8:9]
	v_cmp_gt_i64_e64 s[2:3], s[8:9], v[14:15]
	s_and_saveexec_b64 s[36:37], s[2:3]
	s_cbranch_execz .LBB4_20
; %bb.19:                               ;   in Loop: Header=BB4_8 Depth=1
	v_xor_b32_e32 v9, v0, v9
	v_cndmask_b32_e64 v8, v53, v11, s[0:1]
	v_and_b32_e32 v9, 0x80000000, v9
	v_cndmask_b32_e64 v5, v52, v10, s[0:1]
	v_xor_b32_e32 v9, v8, v9
	v_cndmask_b32_e32 v8, 0, v5, vcc
	v_cndmask_b32_e32 v9, v80, v9, vcc
	v_mul_f64 v[8:9], v[6:7], v[8:9]
	v_cvt_f32_f64_e32 v5, v[8:9]
	v_add_u32_e32 v8, s12, v75
	v_ashrrev_i32_e32 v9, 31, v8
	v_mov_b32_e32 v51, s17
	v_add_co_u32_e64 v8, s[2:3], s16, v8
	v_addc_co_u32_e64 v9, s[2:3], v51, v9, s[2:3]
	v_mov_b32_e32 v51, s13
	v_fma_f32 v5, s14, v5, v51
	global_store_dword v[8:9], v5, off
.LBB4_20:                               ;   in Loop: Header=BB4_8 Depth=1
	s_or_b64 exec, exec, s[36:37]
	v_mov_b32_e32 v5, s15
	v_add_co_u32_e64 v8, s[2:3], s33, v14
	v_addc_co_u32_e64 v9, s[2:3], v5, v15, s[2:3]
	v_cmp_gt_i64_e64 s[2:3], s[8:9], v[8:9]
	s_and_saveexec_b64 s[36:37], s[2:3]
	s_cbranch_execz .LBB4_7
; %bb.21:                               ;   in Loop: Header=BB4_8 Depth=1
	v_xor_b32_e32 v5, 0x80000000, v11
	v_and_b32_e32 v0, 0x80000000, v0
	v_cndmask_b32_e64 v5, v5, v53, s[0:1]
	v_cndmask_b32_e64 v8, v10, v52, s[0:1]
	v_xor_b32_e32 v0, v5, v0
	v_cndmask_b32_e32 v9, v80, v0, vcc
	v_cndmask_b32_e32 v8, 0, v8, vcc
	v_mul_f64 v[6:7], v[6:7], v[8:9]
	v_add_u32_e32 v5, s12, v76
	v_cvt_f32_f64_e32 v0, v[6:7]
	v_ashrrev_i32_e32 v7, 31, v5
	v_mov_b32_e32 v8, s17
	v_add_co_u32_e32 v6, vcc, s16, v5
	v_mov_b32_e32 v5, s13
	v_addc_co_u32_e32 v7, vcc, v8, v7, vcc
	v_fma_f32 v0, s14, v0, v5
	global_store_dword v[6:7], v0, off
	s_branch .LBB4_7
.LBB4_22:
	s_endpgm
.LBB4_23:
                                        ; implicit-def: $sgpr2_sgpr3
	s_andn2_b64 vcc, exec, s[0:1]
	s_cbranch_vccz .LBB4_4
	s_branch .LBB4_5
	.section	.rodata,"a",@progbits
	.p2align	6, 0x0
	.amdhsa_kernel _ZN2at6native12_GLOBAL__N_143distribution_elementwise_grid_stride_kernelIfLi4EZNS0_9templates4cuda20normal_and_transformIffPNS_17CUDAGeneratorImplEZZZNS4_13normal_kernelIS7_EEvRKNS_10TensorBaseEddT_ENKUlvE_clEvENKUlvE0_clEvEUlfE_EEvRNS_18TensorIteratorBaseET1_T2_EUlP25hiprandStatePhilox4_32_10E_ZNS1_27distribution_nullary_kernelIff15HIP_vector_typeIdLj2EES7_SM_SF_EEvSH_SJ_RKT3_T4_EUlifE_EEvlNS_15PhiloxCudaStateESI_SJ_
		.amdhsa_group_segment_fixed_size 0
		.amdhsa_private_segment_fixed_size 0
		.amdhsa_kernarg_size 328
		.amdhsa_user_sgpr_count 6
		.amdhsa_user_sgpr_private_segment_buffer 1
		.amdhsa_user_sgpr_dispatch_ptr 0
		.amdhsa_user_sgpr_queue_ptr 0
		.amdhsa_user_sgpr_kernarg_segment_ptr 1
		.amdhsa_user_sgpr_dispatch_id 0
		.amdhsa_user_sgpr_flat_scratch_init 0
		.amdhsa_user_sgpr_kernarg_preload_length 0
		.amdhsa_user_sgpr_kernarg_preload_offset 0
		.amdhsa_user_sgpr_private_segment_size 0
		.amdhsa_uses_dynamic_stack 0
		.amdhsa_system_sgpr_private_segment_wavefront_offset 0
		.amdhsa_system_sgpr_workgroup_id_x 1
		.amdhsa_system_sgpr_workgroup_id_y 0
		.amdhsa_system_sgpr_workgroup_id_z 0
		.amdhsa_system_sgpr_workgroup_info 0
		.amdhsa_system_vgpr_workitem_id 0
		.amdhsa_next_free_vgpr 96
		.amdhsa_next_free_sgpr 42
		.amdhsa_accum_offset 96
		.amdhsa_reserve_vcc 1
		.amdhsa_reserve_flat_scratch 0
		.amdhsa_float_round_mode_32 0
		.amdhsa_float_round_mode_16_64 0
		.amdhsa_float_denorm_mode_32 3
		.amdhsa_float_denorm_mode_16_64 3
		.amdhsa_dx10_clamp 1
		.amdhsa_ieee_mode 1
		.amdhsa_fp16_overflow 0
		.amdhsa_tg_split 0
		.amdhsa_exception_fp_ieee_invalid_op 0
		.amdhsa_exception_fp_denorm_src 0
		.amdhsa_exception_fp_ieee_div_zero 0
		.amdhsa_exception_fp_ieee_overflow 0
		.amdhsa_exception_fp_ieee_underflow 0
		.amdhsa_exception_fp_ieee_inexact 0
		.amdhsa_exception_int_div_zero 0
	.end_amdhsa_kernel
	.section	.text._ZN2at6native12_GLOBAL__N_143distribution_elementwise_grid_stride_kernelIfLi4EZNS0_9templates4cuda20normal_and_transformIffPNS_17CUDAGeneratorImplEZZZNS4_13normal_kernelIS7_EEvRKNS_10TensorBaseEddT_ENKUlvE_clEvENKUlvE0_clEvEUlfE_EEvRNS_18TensorIteratorBaseET1_T2_EUlP25hiprandStatePhilox4_32_10E_ZNS1_27distribution_nullary_kernelIff15HIP_vector_typeIdLj2EES7_SM_SF_EEvSH_SJ_RKT3_T4_EUlifE_EEvlNS_15PhiloxCudaStateESI_SJ_,"axG",@progbits,_ZN2at6native12_GLOBAL__N_143distribution_elementwise_grid_stride_kernelIfLi4EZNS0_9templates4cuda20normal_and_transformIffPNS_17CUDAGeneratorImplEZZZNS4_13normal_kernelIS7_EEvRKNS_10TensorBaseEddT_ENKUlvE_clEvENKUlvE0_clEvEUlfE_EEvRNS_18TensorIteratorBaseET1_T2_EUlP25hiprandStatePhilox4_32_10E_ZNS1_27distribution_nullary_kernelIff15HIP_vector_typeIdLj2EES7_SM_SF_EEvSH_SJ_RKT3_T4_EUlifE_EEvlNS_15PhiloxCudaStateESI_SJ_,comdat
.Lfunc_end4:
	.size	_ZN2at6native12_GLOBAL__N_143distribution_elementwise_grid_stride_kernelIfLi4EZNS0_9templates4cuda20normal_and_transformIffPNS_17CUDAGeneratorImplEZZZNS4_13normal_kernelIS7_EEvRKNS_10TensorBaseEddT_ENKUlvE_clEvENKUlvE0_clEvEUlfE_EEvRNS_18TensorIteratorBaseET1_T2_EUlP25hiprandStatePhilox4_32_10E_ZNS1_27distribution_nullary_kernelIff15HIP_vector_typeIdLj2EES7_SM_SF_EEvSH_SJ_RKT3_T4_EUlifE_EEvlNS_15PhiloxCudaStateESI_SJ_, .Lfunc_end4-_ZN2at6native12_GLOBAL__N_143distribution_elementwise_grid_stride_kernelIfLi4EZNS0_9templates4cuda20normal_and_transformIffPNS_17CUDAGeneratorImplEZZZNS4_13normal_kernelIS7_EEvRKNS_10TensorBaseEddT_ENKUlvE_clEvENKUlvE0_clEvEUlfE_EEvRNS_18TensorIteratorBaseET1_T2_EUlP25hiprandStatePhilox4_32_10E_ZNS1_27distribution_nullary_kernelIff15HIP_vector_typeIdLj2EES7_SM_SF_EEvSH_SJ_RKT3_T4_EUlifE_EEvlNS_15PhiloxCudaStateESI_SJ_
                                        ; -- End function
	.section	.AMDGPU.csdata,"",@progbits
; Kernel info:
; codeLenInByte = 3824
; NumSgprs: 46
; NumVgprs: 96
; NumAgprs: 0
; TotalNumVgprs: 96
; ScratchSize: 0
; MemoryBound: 0
; FloatMode: 240
; IeeeMode: 1
; LDSByteSize: 0 bytes/workgroup (compile time only)
; SGPRBlocks: 5
; VGPRBlocks: 11
; NumSGPRsForWavesPerEU: 46
; NumVGPRsForWavesPerEU: 96
; AccumOffset: 96
; Occupancy: 5
; WaveLimiterHint : 0
; COMPUTE_PGM_RSRC2:SCRATCH_EN: 0
; COMPUTE_PGM_RSRC2:USER_SGPR: 6
; COMPUTE_PGM_RSRC2:TRAP_HANDLER: 0
; COMPUTE_PGM_RSRC2:TGID_X_EN: 1
; COMPUTE_PGM_RSRC2:TGID_Y_EN: 0
; COMPUTE_PGM_RSRC2:TGID_Z_EN: 0
; COMPUTE_PGM_RSRC2:TIDIG_COMP_CNT: 0
; COMPUTE_PGM_RSRC3_GFX90A:ACCUM_OFFSET: 23
; COMPUTE_PGM_RSRC3_GFX90A:TG_SPLIT: 0
	.section	.text._ZN2at6native12_GLOBAL__N_143distribution_elementwise_grid_stride_kernelIfLi4EZNS0_9templates4cuda20normal_and_transformIffPNS_17CUDAGeneratorImplEZZZNS4_13normal_kernelIS7_EEvRKNS_10TensorBaseEddT_ENKUlvE_clEvENKUlvE0_clEvEUlfE_EEvRNS_18TensorIteratorBaseET1_T2_EUlP25hiprandStatePhilox4_32_10E_ZNS1_27distribution_nullary_kernelIff15HIP_vector_typeIdLj2EES7_SM_SF_EEvSH_SJ_RKT3_T4_EUlifE0_EEvlNS_15PhiloxCudaStateESI_SJ_,"axG",@progbits,_ZN2at6native12_GLOBAL__N_143distribution_elementwise_grid_stride_kernelIfLi4EZNS0_9templates4cuda20normal_and_transformIffPNS_17CUDAGeneratorImplEZZZNS4_13normal_kernelIS7_EEvRKNS_10TensorBaseEddT_ENKUlvE_clEvENKUlvE0_clEvEUlfE_EEvRNS_18TensorIteratorBaseET1_T2_EUlP25hiprandStatePhilox4_32_10E_ZNS1_27distribution_nullary_kernelIff15HIP_vector_typeIdLj2EES7_SM_SF_EEvSH_SJ_RKT3_T4_EUlifE0_EEvlNS_15PhiloxCudaStateESI_SJ_,comdat
	.globl	_ZN2at6native12_GLOBAL__N_143distribution_elementwise_grid_stride_kernelIfLi4EZNS0_9templates4cuda20normal_and_transformIffPNS_17CUDAGeneratorImplEZZZNS4_13normal_kernelIS7_EEvRKNS_10TensorBaseEddT_ENKUlvE_clEvENKUlvE0_clEvEUlfE_EEvRNS_18TensorIteratorBaseET1_T2_EUlP25hiprandStatePhilox4_32_10E_ZNS1_27distribution_nullary_kernelIff15HIP_vector_typeIdLj2EES7_SM_SF_EEvSH_SJ_RKT3_T4_EUlifE0_EEvlNS_15PhiloxCudaStateESI_SJ_ ; -- Begin function _ZN2at6native12_GLOBAL__N_143distribution_elementwise_grid_stride_kernelIfLi4EZNS0_9templates4cuda20normal_and_transformIffPNS_17CUDAGeneratorImplEZZZNS4_13normal_kernelIS7_EEvRKNS_10TensorBaseEddT_ENKUlvE_clEvENKUlvE0_clEvEUlfE_EEvRNS_18TensorIteratorBaseET1_T2_EUlP25hiprandStatePhilox4_32_10E_ZNS1_27distribution_nullary_kernelIff15HIP_vector_typeIdLj2EES7_SM_SF_EEvSH_SJ_RKT3_T4_EUlifE0_EEvlNS_15PhiloxCudaStateESI_SJ_
	.p2align	8
	.type	_ZN2at6native12_GLOBAL__N_143distribution_elementwise_grid_stride_kernelIfLi4EZNS0_9templates4cuda20normal_and_transformIffPNS_17CUDAGeneratorImplEZZZNS4_13normal_kernelIS7_EEvRKNS_10TensorBaseEddT_ENKUlvE_clEvENKUlvE0_clEvEUlfE_EEvRNS_18TensorIteratorBaseET1_T2_EUlP25hiprandStatePhilox4_32_10E_ZNS1_27distribution_nullary_kernelIff15HIP_vector_typeIdLj2EES7_SM_SF_EEvSH_SJ_RKT3_T4_EUlifE0_EEvlNS_15PhiloxCudaStateESI_SJ_,@function
_ZN2at6native12_GLOBAL__N_143distribution_elementwise_grid_stride_kernelIfLi4EZNS0_9templates4cuda20normal_and_transformIffPNS_17CUDAGeneratorImplEZZZNS4_13normal_kernelIS7_EEvRKNS_10TensorBaseEddT_ENKUlvE_clEvENKUlvE0_clEvEUlfE_EEvRNS_18TensorIteratorBaseET1_T2_EUlP25hiprandStatePhilox4_32_10E_ZNS1_27distribution_nullary_kernelIff15HIP_vector_typeIdLj2EES7_SM_SF_EEvSH_SJ_RKT3_T4_EUlifE0_EEvlNS_15PhiloxCudaStateESI_SJ_: ; @_ZN2at6native12_GLOBAL__N_143distribution_elementwise_grid_stride_kernelIfLi4EZNS0_9templates4cuda20normal_and_transformIffPNS_17CUDAGeneratorImplEZZZNS4_13normal_kernelIS7_EEvRKNS_10TensorBaseEddT_ENKUlvE_clEvENKUlvE0_clEvEUlfE_EEvRNS_18TensorIteratorBaseET1_T2_EUlP25hiprandStatePhilox4_32_10E_ZNS1_27distribution_nullary_kernelIff15HIP_vector_typeIdLj2EES7_SM_SF_EEvSH_SJ_RKT3_T4_EUlifE0_EEvlNS_15PhiloxCudaStateESI_SJ_
; %bb.0:
	s_load_dword s2, s[4:5], 0x20
	s_load_dwordx2 s[0:1], s[4:5], 0x10
	s_load_dwordx4 s[24:27], s[4:5], 0x0
	s_waitcnt lgkmcnt(0)
	s_bitcmp0_b32 s2, 0
	s_mov_b32 s2, 0
	v_pk_mov_b32 v[2:3], s[0:1], s[0:1] op_sel:[0,1]
	v_pk_mov_b32 v[12:13], s[26:27], s[26:27] op_sel:[0,1]
	s_cbranch_scc1 .LBB5_2
; %bb.1:
	v_pk_mov_b32 v[2:3], s[0:1], s[0:1] op_sel:[0,1]
	flat_load_dwordx2 v[2:3], v[2:3]
	v_pk_mov_b32 v[4:5], s[26:27], s[26:27] op_sel:[0,1]
	flat_load_dwordx2 v[12:13], v[4:5]
	s_load_dwordx2 s[0:1], s[4:5], 0x18
	s_waitcnt lgkmcnt(0)
	v_mov_b32_e32 v1, s1
	s_waitcnt vmcnt(0)
	v_add_co_u32_e32 v2, vcc, s0, v2
	v_addc_co_u32_e32 v3, vcc, v3, v1, vcc
.LBB5_2:
	s_load_dword s0, s[4:5], 0x154
	s_load_dword s7, s[4:5], 0x148
	s_waitcnt lgkmcnt(0)
	s_and_b32 s8, s0, 0xffff
	s_add_u32 s9, s24, -1
	s_mul_i32 s33, s7, s8
	s_addc_u32 s3, s25, -1
	s_lshl_b32 s82, s33, 2
	s_cmp_lg_u64 s[2:3], 0
	s_mov_b64 s[0:1], -1
	s_cbranch_scc0 .LBB5_51
; %bb.3:
	v_cvt_f32_u32_e32 v1, s82
	v_cvt_f32_ubyte0_e32 v4, 0
	s_sub_u32 s2, 0, s82
	s_subb_u32 s10, 0, 0
	v_madmk_f32 v1, v4, 0x4f800000, v1
	v_rcp_f32_e32 v1, v1
	v_mul_f32_e32 v1, 0x5f7ffffc, v1
	v_mul_f32_e32 v4, 0x2f800000, v1
	v_trunc_f32_e32 v4, v4
	v_madmk_f32 v1, v4, 0xcf800000, v1
	v_cvt_u32_f32_e32 v4, v4
	v_cvt_u32_f32_e32 v1, v1
	v_readfirstlane_b32 s11, v4
	v_readfirstlane_b32 s12, v1
	s_mul_i32 s13, s2, s11
	s_mul_hi_u32 s15, s2, s12
	s_mul_i32 s14, s10, s12
	s_add_i32 s13, s15, s13
	s_add_i32 s13, s13, s14
	s_mul_i32 s16, s2, s12
	s_mul_hi_u32 s14, s12, s13
	s_mul_i32 s15, s12, s13
	s_mul_hi_u32 s12, s12, s16
	s_add_u32 s12, s12, s15
	s_addc_u32 s14, 0, s14
	s_mul_hi_u32 s17, s11, s16
	s_mul_i32 s16, s11, s16
	s_add_u32 s12, s12, s16
	s_mul_hi_u32 s15, s11, s13
	s_addc_u32 s12, s14, s17
	s_addc_u32 s14, s15, 0
	s_mul_i32 s13, s11, s13
	s_add_u32 s12, s12, s13
	s_addc_u32 s13, 0, s14
	v_add_co_u32_e32 v1, vcc, s12, v1
	s_cmp_lg_u64 vcc, 0
	s_addc_u32 s11, s11, s13
	v_readfirstlane_b32 s13, v1
	s_mul_i32 s12, s2, s11
	s_mul_hi_u32 s14, s2, s13
	s_add_i32 s12, s14, s12
	s_mul_i32 s10, s10, s13
	s_add_i32 s12, s12, s10
	s_mul_i32 s2, s2, s13
	s_mul_hi_u32 s14, s11, s2
	s_mul_i32 s15, s11, s2
	s_mul_i32 s17, s13, s12
	s_mul_hi_u32 s2, s13, s2
	s_mul_hi_u32 s16, s13, s12
	s_add_u32 s2, s2, s17
	s_addc_u32 s13, 0, s16
	s_add_u32 s2, s2, s15
	s_mul_hi_u32 s10, s11, s12
	s_addc_u32 s2, s13, s14
	s_addc_u32 s10, s10, 0
	s_mul_i32 s12, s11, s12
	s_add_u32 s2, s2, s12
	s_addc_u32 s10, 0, s10
	v_add_co_u32_e32 v1, vcc, s2, v1
	s_cmp_lg_u64 vcc, 0
	s_addc_u32 s12, s11, s10
	s_ashr_i32 s10, s3, 31
	s_add_u32 s2, s9, s10
	s_mov_b32 s11, s10
	s_addc_u32 s3, s3, s10
	s_xor_b64 s[2:3], s[2:3], s[10:11]
	v_readfirstlane_b32 s15, v1
	s_mul_i32 s14, s2, s12
	s_mul_hi_u32 s16, s2, s15
	s_mul_hi_u32 s13, s2, s12
	s_add_u32 s14, s16, s14
	s_addc_u32 s13, 0, s13
	s_mul_hi_u32 s17, s3, s15
	s_mul_i32 s15, s3, s15
	s_add_u32 s14, s14, s15
	s_mul_hi_u32 s16, s3, s12
	s_addc_u32 s13, s13, s17
	s_addc_u32 s14, s16, 0
	s_mul_i32 s12, s3, s12
	s_add_u32 s12, s13, s12
	s_addc_u32 s13, 0, s14
	s_add_u32 s14, s12, 1
	s_addc_u32 s15, s13, 0
	s_add_u32 s16, s12, 2
	s_mul_i32 s18, s82, s13
	s_mul_hi_u32 s19, s82, s12
	s_addc_u32 s17, s13, 0
	s_add_i32 s19, s19, s18
	s_mul_i32 s18, s82, s12
	v_mov_b32_e32 v1, s18
	v_sub_co_u32_e32 v1, vcc, s2, v1
	s_cmp_lg_u64 vcc, 0
	s_subb_u32 s2, s3, s19
	v_subrev_co_u32_e32 v4, vcc, s82, v1
	s_cmp_lg_u64 vcc, 0
	s_subb_u32 s3, s2, 0
	v_readfirstlane_b32 s18, v4
	s_cmp_ge_u32 s18, s82
	s_cselect_b32 s18, -1, 0
	s_cmp_eq_u32 s3, 0
	s_cselect_b32 s3, s18, -1
	s_cmp_lg_u32 s3, 0
	s_cselect_b32 s3, s17, s15
	v_readfirstlane_b32 s15, v1
	s_cselect_b32 s14, s16, s14
	s_cmp_ge_u32 s15, s82
	s_cselect_b32 s15, -1, 0
	s_cmp_eq_u32 s2, 0
	s_cselect_b32 s2, s15, -1
	s_cmp_lg_u32 s2, 0
	s_cselect_b32 s3, s3, s13
	s_cselect_b32 s2, s14, s12
	s_xor_b64 s[2:3], s[2:3], s[10:11]
	s_sub_u32 s2, s2, s10
	s_subb_u32 s3, s3, s10
	s_cbranch_execnz .LBB5_5
.LBB5_4:
	v_cvt_f32_u32_e32 v1, s82
	s_sub_i32 s0, 0, s82
	s_mov_b32 s3, 0
	v_rcp_iflag_f32_e32 v1, v1
	v_mul_f32_e32 v1, 0x4f7ffffe, v1
	v_cvt_u32_f32_e32 v1, v1
	v_readfirstlane_b32 s1, v1
	s_mul_i32 s0, s0, s1
	s_mul_hi_u32 s0, s1, s0
	s_add_i32 s1, s1, s0
	s_mul_hi_u32 s0, s9, s1
	s_mul_i32 s2, s0, s82
	s_sub_i32 s2, s9, s2
	s_add_i32 s1, s0, 1
	s_sub_i32 s9, s2, s82
	s_cmp_ge_u32 s2, s82
	s_cselect_b32 s0, s1, s0
	s_cselect_b32 s2, s9, s2
	s_add_i32 s1, s0, 1
	s_cmp_ge_u32 s2, s82
	s_cselect_b32 s2, s1, s0
.LBB5_5:
	v_mov_b32_e32 v1, 0
	v_mov_b32_e32 v4, s6
	v_mad_u64_u32 v[14:15], s[0:1], s8, v4, v[0:1]
	s_add_u32 s0, s2, 1
	s_addc_u32 s1, s3, 0
	s_mul_hi_u32 s2, s7, s8
	s_mul_i32 s1, s33, s1
	s_mul_hi_u32 s3, s33, s0
	s_add_i32 s1, s3, s1
	s_mul_i32 s2, s2, s0
	s_add_i32 s1, s1, s2
	s_mul_i32 s0, s33, s0
	s_lshl_b64 s[26:27], s[0:1], 2
	v_cmp_gt_i64_e32 vcc, s[26:27], v[14:15]
	s_and_saveexec_b64 s[0:1], vcc
	s_cbranch_execz .LBB5_50
; %bb.6:
	s_mov_b32 s0, 0x5384540f
	v_mov_b32_e32 v0, v13
	v_add_co_u32_e32 v60, vcc, s0, v12
	s_mov_b32 s0, 0x646e171e
	v_add_co_u32_e32 v61, vcc, s0, v0
	s_mov_b32 s0, 0x1715609d
	;; [unrolled: 2-line block ×6, first 2 shown]
	v_alignbit_b32 v67, v3, v2, 2
	s_mov_b32 s84, 0xd2511f53
	v_add_co_u32_e32 v66, vcc, s0, v12
	v_mad_u64_u32 v[4:5], s[0:1], v67, s84, 0
	v_and_b32_e32 v56, 3, v2
	v_xor_b32_e32 v2, v5, v13
	v_xor_b32_e32 v2, v2, v15
	s_mov_b32 s85, 0xcd9e8d57
	v_mad_u64_u32 v[6:7], s[0:1], v2, s85, 0
	v_xor_b32_e32 v2, v66, v7
	v_mad_u64_u32 v[8:9], s[0:1], v14, s85, 0
	v_xor_b32_e32 v2, v2, v8
	;; [unrolled: 2-line block ×3, first 2 shown]
	v_lshrrev_b32_e32 v68, 2, v3
	v_xor_b32_e32 v2, v2, v68
	v_xor_b32_e32 v5, v65, v11
	v_mad_u64_u32 v[2:3], s[0:1], v2, s84, 0
	v_xor_b32_e32 v2, v5, v2
	v_mad_u64_u32 v[8:9], s[0:1], v2, s85, 0
	s_mov_b32 s0, 0xbb67ae85
	v_add_co_u32_e32 v69, vcc, s0, v0
	v_xor_b32_e32 v2, v69, v3
	v_xor_b32_e32 v2, v2, v4
	v_xor_b32_e32 v5, v64, v9
	v_mad_u64_u32 v[2:3], s[0:1], v2, s85, 0
	v_xor_b32_e32 v2, v5, v2
	v_mad_u64_u32 v[4:5], s[0:1], v2, s84, 0
	s_mov_b32 s0, 0x3c6ef372
	v_add_co_u32_e32 v70, vcc, s0, v12
	v_xor_b32_e32 v2, v70, v3
	;; [unrolled: 8-line block ×6, first 2 shown]
	v_add_co_u32_e32 v59, vcc, 0xdb3d7428, v0
	v_xor_b32_e32 v2, v2, v6
	v_xor_b32_e32 v5, v59, v5
	v_mad_u64_u32 v[2:3], s[0:1], v2, s84, 0
	v_xor_b32_e32 v2, v5, v2
	v_mad_u64_u32 v[16:17], s[0:1], v2, s85, 0
	s_mov_b32 s0, 0x1fd5c5a3
	v_add_co_u32_e32 v75, vcc, s0, v0
	v_xor_b32_e32 v0, v75, v3
	v_xor_b32_e32 v0, v0, v10
	v_mad_u64_u32 v[2:3], s[0:1], v0, s85, 0
	s_mov_b32 s0, 0xf1bbcdc8
	s_load_dwordx8 s[8:15], s[4:5], 0x30
	v_add_u32_e32 v57, 0x8ff34781, v12
	v_xor_b32_e32 v0, v17, v2
	v_add_co_u32_e32 v76, vcc, s0, v12
	v_xor_b32_e32 v6, v57, v0
	v_xor_b32_e32 v0, v76, v3
	;; [unrolled: 1-line block ×3, first 2 shown]
	s_add_u32 s34, s4, 48
	v_mad_u64_u32 v[2:3], s[0:1], v0, s84, 0
	s_addc_u32 s35, s5, 0
	s_waitcnt lgkmcnt(0)
	s_add_i32 s0, s8, -1
	s_cmp_gt_u32 s0, 1
	s_cselect_b64 s[44:45], -1, 0
	s_cmp_lg_u32 s8, 0
	s_cselect_b64 s[46:47], -1, 0
	s_add_u32 s48, s4, 0xf4
	s_addc_u32 s49, s5, 0
	s_min_u32 s1, s0, 15
	s_cmp_gt_u32 s8, 1
	s_cselect_b64 s[50:51], -1, 0
	s_add_i32 s1, s1, 1
	s_mov_b32 s8, s13
	s_load_dwordx2 s[52:53], s[4:5], 0xf4
	s_load_dwordx4 s[28:31], s[4:5], 0x138
	s_and_b32 s13, s1, 3
	s_cmp_lg_u32 s0, 2
	s_cselect_b64 s[54:55], -1, 0
	s_and_b32 s15, s1, 28
	v_add_u32_e32 v58, 0x96a522ad, v13
	v_xor_b32_e32 v0, v3, v4
	s_cmp_lg_u32 s13, 0
	s_mov_b32 s60, 0x55555555
	s_mov_b32 s62, 0xbf559e2b
	;; [unrolled: 1-line block ×10, first 2 shown]
	v_xor_b32_e32 v8, v58, v0
	v_mov_b32_e32 v7, v16
	v_mov_b32_e32 v9, v2
	s_mov_b64 s[56:57], 0
	s_cselect_b64 s[58:59], -1, 0
	s_mov_b32 s61, 0x3fe55555
	s_mov_b32 s63, 0x3fc3ab76
	;; [unrolled: 1-line block ×5, first 2 shown]
	s_brev_b32 s71, 8
	s_mov_b32 s73, 0x3f3e357e
	s_mov_b32 s75, 0x400921fb
	s_mov_b32 s77, 0xbf1b1673
	v_mov_b32_e32 v16, 0x6b47b09a
	v_mov_b32_e32 v17, 0x3fc38538
	;; [unrolled: 1-line block ×41, first 2 shown]
	s_branch .LBB5_9
.LBB5_7:                                ;   in Loop: Header=BB5_9 Depth=1
	v_xor_b32_e32 v5, 0x80000000, v9
	v_and_b32_e32 v0, 0x80000000, v0
	v_cndmask_b32_e64 v5, v5, v11, s[2:3]
	v_cndmask_b32_e64 v8, v8, v10, s[2:3]
	v_xor_b32_e32 v0, v5, v0
	v_cndmask_b32_e64 v9, v81, v0, s[0:1]
	v_cndmask_b32_e64 v8, 0, v8, s[0:1]
	v_mul_f64 v[6:7], v[6:7], v[8:9]
	v_cvt_f32_f64_e32 v0, v[6:7]
	s_waitcnt lgkmcnt(0)
	v_mov_b32_e32 v5, s30
	v_fma_f32 v0, s31, v0, v5
	global_store_dword v54, v0, s[28:29]
.LBB5_8:                                ;   in Loop: Header=BB5_9 Depth=1
	s_or_b64 exec, exec, s[40:41]
	v_add_co_u32_e32 v14, vcc, s82, v14
	v_mov_b32_e32 v5, v50
	v_addc_co_u32_e32 v15, vcc, 0, v15, vcc
	v_cmp_le_i64_e32 vcc, s[26:27], v[14:15]
	v_pk_mov_b32 v[8:9], v[4:5], v[4:5] op_sel:[0,1]
	s_or_b64 s[56:57], vcc, s[56:57]
	v_pk_mov_b32 v[6:7], v[2:3], v[2:3] op_sel:[0,1]
	s_waitcnt lgkmcnt(0)
	s_barrier
	s_andn2_b64 exec, exec, s[56:57]
	s_cbranch_execz .LBB5_50
.LBB5_9:                                ; =>This Loop Header: Depth=1
                                        ;     Child Loop BB5_24 Depth 2
                                        ;     Child Loop BB5_30 Depth 2
	;; [unrolled: 1-line block ×4, first 2 shown]
	v_add_co_u32_e32 v67, vcc, 1, v67
	v_cndmask_b32_e64 v0, 0, 1, vcc
	v_addc_co_u32_e32 v68, vcc, 0, v68, vcc
	v_cmp_eq_u32_e32 vcc, 0, v68
	v_cndmask_b32_e32 v0, 0, v0, vcc
	v_add_u32_e32 v82, v0, v82
	v_cmp_eq_u32_e32 vcc, 0, v82
	v_cndmask_b32_e32 v0, 0, v0, vcc
	v_mad_u64_u32 v[2:3], s[0:1], v67, s84, 0
	v_mad_u64_u32 v[4:5], s[0:1], v82, s85, 0
	v_add_u32_e32 v83, v0, v83
	v_xor_b32_e32 v0, v5, v12
	v_xor_b32_e32 v3, v3, v13
	v_xor_b32_e32 v0, v68, v0
	v_xor_b32_e32 v3, v83, v3
	v_mad_u64_u32 v[10:11], s[0:1], v0, s84, 0
	v_mad_u64_u32 v[50:51], s[0:1], v3, s85, 0
	v_xor_b32_e32 v0, v66, v51
	v_xor_b32_e32 v3, v69, v11
	v_xor_b32_e32 v0, v0, v4
	v_xor_b32_e32 v4, v3, v2
	v_mad_u64_u32 v[2:3], s[0:1], v0, s84, 0
	v_mad_u64_u32 v[4:5], s[0:1], v4, s85, 0
	;; [unrolled: 6-line block ×9, first 2 shown]
	v_xor_b32_e32 v0, v11, v2
	v_xor_b32_e32 v2, v57, v0
	;; [unrolled: 1-line block ×4, first 2 shown]
	v_mov_b32_e32 v3, v10
	v_mov_b32_e32 v4, v11
	v_cmp_lt_i32_e32 vcc, 1, v56
	s_and_saveexec_b64 s[0:1], vcc
	s_xor_b64 s[0:1], exec, s[0:1]
	s_cbranch_execz .LBB5_15
; %bb.10:                               ;   in Loop: Header=BB5_9 Depth=1
	v_cmp_lt_i32_e32 vcc, 2, v56
	s_and_saveexec_b64 s[2:3], vcc
	s_xor_b64 s[2:3], exec, s[2:3]
; %bb.11:                               ;   in Loop: Header=BB5_9 Depth=1
	v_mov_b32_e32 v8, v9
	v_mov_b32_e32 v9, v2
	v_pk_mov_b32 v[6:7], v[8:9], v[8:9] op_sel:[0,1]
	v_pk_mov_b32 v[8:9], v[10:11], v[10:11] op_sel:[0,1]
                                        ; implicit-def: $vgpr10_vgpr11
; %bb.12:                               ;   in Loop: Header=BB5_9 Depth=1
	s_andn2_saveexec_b64 s[2:3], s[2:3]
; %bb.13:                               ;   in Loop: Header=BB5_9 Depth=1
	v_mov_b32_e32 v6, v8
	v_mov_b32_e32 v7, v9
	;; [unrolled: 1-line block ×4, first 2 shown]
; %bb.14:                               ;   in Loop: Header=BB5_9 Depth=1
	s_or_b64 exec, exec, s[2:3]
.LBB5_15:                               ;   in Loop: Header=BB5_9 Depth=1
	s_andn2_saveexec_b64 s[0:1], s[0:1]
	s_cbranch_execz .LBB5_19
; %bb.16:                               ;   in Loop: Header=BB5_9 Depth=1
	v_cmp_eq_u32_e32 vcc, 1, v56
	s_and_saveexec_b64 s[2:3], vcc
; %bb.17:                               ;   in Loop: Header=BB5_9 Depth=1
	v_mov_b32_e32 v6, v7
	v_mov_b32_e32 v7, v8
	;; [unrolled: 1-line block ×4, first 2 shown]
; %bb.18:                               ;   in Loop: Header=BB5_9 Depth=1
	s_or_b64 exec, exec, s[2:3]
.LBB5_19:                               ;   in Loop: Header=BB5_9 Depth=1
	s_or_b64 exec, exec, s[0:1]
	v_mov_b32_e32 v0, v7
	v_lshlrev_b64 v[10:11], 21, v[0:1]
	v_xor_b32_e32 v0, v10, v6
	v_cvt_f64_u32_e32 v[6:7], v11
	v_ldexp_f64 v[6:7], v[6:7], 32
	v_cvt_f64_u32_e32 v[10:11], v0
	v_add_f64 v[6:7], v[6:7], v[10:11]
	v_mov_b32_e32 v10, 0
	v_mov_b32_e32 v11, 0x3ca00000
	v_fmac_f64_e32 v[10:11], 0x3ca00000, v[6:7]
	v_frexp_mant_f64_e32 v[52:53], v[10:11]
	v_cmp_gt_f64_e32 vcc, s[60:61], v[52:53]
	v_cndmask_b32_e64 v55, v78, 2.0, vcc
	v_mov_b32_e32 v54, v1
	v_mul_f64 v[52:53], v[52:53], v[54:55]
	v_add_f64 v[54:55], v[52:53], 1.0
	v_rcp_f64_e32 v[84:85], v[54:55]
	v_add_f64 v[88:89], v[54:55], -1.0
	v_add_f64 v[86:87], v[52:53], -1.0
	v_add_f64 v[52:53], v[52:53], -v[88:89]
	v_fma_f64 v[88:89], -v[54:55], v[84:85], 1.0
	v_fmac_f64_e32 v[84:85], v[88:89], v[84:85]
	v_fma_f64 v[88:89], -v[54:55], v[84:85], 1.0
	v_fmac_f64_e32 v[84:85], v[88:89], v[84:85]
	v_mul_f64 v[88:89], v[86:87], v[84:85]
	v_mul_f64 v[90:91], v[54:55], v[88:89]
	v_fma_f64 v[54:55], v[88:89], v[54:55], -v[90:91]
	v_fmac_f64_e32 v[54:55], v[88:89], v[52:53]
	v_add_f64 v[52:53], v[90:91], v[54:55]
	v_add_f64 v[92:93], v[86:87], -v[52:53]
	v_add_f64 v[90:91], v[52:53], -v[90:91]
	;; [unrolled: 1-line block ×5, first 2 shown]
	v_add_f64 v[52:53], v[54:55], v[52:53]
	v_add_f64 v[52:53], v[92:93], v[52:53]
	v_mul_f64 v[52:53], v[84:85], v[52:53]
	v_add_f64 v[54:55], v[88:89], v[52:53]
	v_add_f64 v[84:85], v[54:55], -v[88:89]
	v_add_f64 v[52:53], v[52:53], -v[84:85]
	v_mul_f64 v[84:85], v[54:55], v[54:55]
	v_pk_mov_b32 v[86:87], v[16:17], v[16:17] op_sel:[0,1]
	v_fmac_f64_e32 v[86:87], s[62:63], v[84:85]
	v_pk_mov_b32 v[88:89], v[18:19], v[18:19] op_sel:[0,1]
	v_fmac_f64_e32 v[88:89], v[84:85], v[86:87]
	;; [unrolled: 2-line block ×6, first 2 shown]
	v_ldexp_f64 v[86:87], v[54:55], 1
	v_mul_f64 v[54:55], v[54:55], v[84:85]
	v_mul_f64 v[54:55], v[54:55], v[88:89]
	v_add_f64 v[84:85], v[86:87], v[54:55]
	v_mov_b32_e32 v0, v9
	v_add_f64 v[86:87], v[84:85], -v[86:87]
	v_lshlrev_b64 v[6:7], 21, v[0:1]
	v_ldexp_f64 v[52:53], v[52:53], 1
	v_add_f64 v[54:55], v[54:55], -v[86:87]
	v_xor_b32_e32 v0, v6, v8
	v_add_f64 v[52:53], v[52:53], v[54:55]
	v_cvt_f64_u32_e32 v[8:9], v0
	v_frexp_exp_i32_f64_e32 v0, v[10:11]
	v_add_f64 v[54:55], v[84:85], v[52:53]
	v_subbrev_co_u32_e32 v0, vcc, 0, v0, vcc
	v_add_f64 v[84:85], v[54:55], -v[84:85]
	v_add_f64 v[52:53], v[52:53], -v[84:85]
	v_cvt_f64_i32_e32 v[84:85], v0
	v_mul_f64 v[86:87], v[84:85], s[64:65]
	v_fma_f64 v[88:89], v[84:85], s[64:65], -v[86:87]
	v_fmac_f64_e32 v[88:89], s[66:67], v[84:85]
	v_add_f64 v[84:85], v[86:87], v[88:89]
	v_add_f64 v[86:87], v[84:85], -v[86:87]
	v_add_f64 v[86:87], v[88:89], -v[86:87]
	v_add_f64 v[88:89], v[84:85], v[54:55]
	v_add_f64 v[90:91], v[88:89], -v[84:85]
	v_add_f64 v[92:93], v[88:89], -v[90:91]
	;; [unrolled: 1-line block ×4, first 2 shown]
	v_add_f64 v[54:55], v[54:55], v[84:85]
	v_add_f64 v[84:85], v[86:87], v[52:53]
	v_add_f64 v[90:91], v[84:85], -v[86:87]
	v_add_f64 v[92:93], v[84:85], -v[90:91]
	v_add_f64 v[54:55], v[84:85], v[54:55]
	v_add_f64 v[86:87], v[86:87], -v[92:93]
	v_add_f64 v[52:53], v[52:53], -v[90:91]
	v_add_f64 v[84:85], v[88:89], v[54:55]
	v_add_f64 v[52:53], v[52:53], v[86:87]
	v_add_f64 v[86:87], v[84:85], -v[88:89]
	v_add_f64 v[54:55], v[54:55], -v[86:87]
	v_add_f64 v[52:53], v[52:53], v[54:55]
	v_add_f64 v[52:53], v[84:85], v[52:53]
	v_cmp_eq_f64_e32 vcc, s[68:69], v[10:11]
	v_cndmask_b32_e32 v53, v53, v11, vcc
	v_cndmask_b32_e32 v52, v52, v10, vcc
	v_mul_f64 v[52:53], v[52:53], -2.0
	v_cmp_neq_f64_e32 vcc, 0, v[10:11]
	v_cndmask_b32_e32 v11, v79, v53, vcc
	v_cndmask_b32_e32 v10, 0, v52, vcc
	v_cmp_gt_f64_e32 vcc, s[70:71], v[10:11]
	v_cndmask_b32_e64 v0, 0, 1, vcc
	v_lshlrev_b32_e32 v0, 8, v0
	v_ldexp_f64 v[10:11], v[10:11], v0
	v_rsq_f64_e32 v[54:55], v[10:11]
	v_cvt_f64_u32_e32 v[6:7], v7
	v_ldexp_f64 v[6:7], v[6:7], 32
	v_mov_b32_e32 v52, 0
	v_add_f64 v[6:7], v[6:7], v[8:9]
	v_mov_b32_e32 v53, 0x3cb00000
	v_fmac_f64_e32 v[52:53], 0x3cb00000, v[6:7]
	v_mul_f64 v[6:7], v[10:11], v[54:55]
	v_mul_f64 v[8:9], v[54:55], 0.5
	v_fma_f64 v[54:55], -v[8:9], v[6:7], 0.5
	v_fmac_f64_e32 v[6:7], v[6:7], v[54:55]
	v_fma_f64 v[84:85], -v[6:7], v[6:7], v[10:11]
	v_fmac_f64_e32 v[8:9], v[8:9], v[54:55]
	v_fmac_f64_e32 v[6:7], v[84:85], v[8:9]
	v_fma_f64 v[54:55], -v[6:7], v[6:7], v[10:11]
	v_fmac_f64_e32 v[6:7], v[54:55], v[8:9]
	v_cndmask_b32_e32 v0, 0, v80, vcc
	v_ldexp_f64 v[6:7], v[6:7], v0
	v_cmp_class_f64_e32 vcc, v[10:11], v77
	v_mul_f64 v[8:9], v[52:53], 0.5
	v_cndmask_b32_e32 v7, v7, v11, vcc
	v_cndmask_b32_e32 v6, v6, v10, vcc
	v_fract_f64_e32 v[10:11], v[8:9]
	v_add_f64 v[10:11], v[10:11], v[10:11]
	v_cmp_neq_f64_e32 vcc, s[68:69], v[8:9]
	v_cndmask_b32_e32 v0, 0, v10, vcc
	v_cndmask_b32_e32 v5, 0, v11, vcc
	v_cmp_lt_f64_e32 vcc, 1.0, v[52:53]
	v_cndmask_b32_e32 v11, v53, v5, vcc
	v_cndmask_b32_e32 v10, v52, v0, vcc
	v_add_f64 v[8:9], v[10:11], v[10:11]
	v_rndne_f64_e32 v[8:9], v[8:9]
	v_fmac_f64_e32 v[10:11], -0.5, v[8:9]
	v_cvt_i32_f64_e32 v5, v[8:9]
	v_mul_f64 v[54:55], v[10:11], v[10:11]
	v_pk_mov_b32 v[8:9], v[28:29], v[28:29] op_sel:[0,1]
	v_fmac_f64_e32 v[8:9], s[72:73], v[54:55]
	v_pk_mov_b32 v[84:85], v[30:31], v[30:31] op_sel:[0,1]
	v_fmac_f64_e32 v[84:85], v[54:55], v[8:9]
	;; [unrolled: 2-line block ×5, first 2 shown]
	v_mul_f64 v[84:85], v[10:11], v[54:55]
	v_mul_f64 v[8:9], v[84:85], v[8:9]
	v_fmac_f64_e32 v[8:9], s[74:75], v[10:11]
	v_pk_mov_b32 v[10:11], v[38:39], v[38:39] op_sel:[0,1]
	v_fmac_f64_e32 v[10:11], s[76:77], v[54:55]
	v_pk_mov_b32 v[84:85], v[40:41], v[40:41] op_sel:[0,1]
	;; [unrolled: 2-line block ×6, first 2 shown]
	v_lshlrev_b32_e32 v0, 30, v5
	v_and_b32_e32 v5, 1, v5
	v_fmac_f64_e32 v[84:85], v[54:55], v[10:11]
	v_cmp_eq_u32_e64 s[2:3], 0, v5
	v_cndmask_b32_e64 v5, 0, 1, s[44:45]
	v_fma_f64 v[10:11], v[54:55], v[84:85], 1.0
	v_cmp_lg_f64_e64 s[0:1], s[68:69], v[52:53]
	v_cmp_gt_i64_e32 vcc, s[24:25], v[14:15]
	v_cmp_ne_u32_e64 s[4:5], 1, v5
	s_and_saveexec_b64 s[6:7], vcc
	s_cbranch_execz .LBB5_35
; %bb.20:                               ;   in Loop: Header=BB5_9 Depth=1
	s_and_b64 vcc, exec, s[4:5]
	s_cbranch_vccnz .LBB5_26
; %bb.21:                               ;   in Loop: Header=BB5_9 Depth=1
	s_andn2_b64 vcc, exec, s[46:47]
	s_cbranch_vccnz .LBB5_27
; %bb.22:                               ;   in Loop: Header=BB5_9 Depth=1
	s_mov_b32 s18, 0
	s_andn2_b64 vcc, exec, s[54:55]
	v_mov_b32_e32 v54, 0
	s_cbranch_vccnz .LBB5_28
; %bb.23:                               ;   in Loop: Header=BB5_9 Depth=1
	s_mov_b32 s86, 0
	v_mov_b32_e32 v54, 0
	s_mov_b64 s[78:79], s[34:35]
	s_mov_b64 s[80:81], s[48:49]
	v_mov_b32_e32 v5, v14
.LBB5_24:                               ;   Parent Loop BB5_9 Depth=1
                                        ; =>  This Inner Loop Header: Depth=2
	s_load_dwordx8 s[16:23], s[78:79], 0x4
	s_load_dwordx4 s[36:39], s[78:79], 0x24
	s_load_dwordx4 s[40:43], s[80:81], 0x0
	s_add_u32 s78, s78, 48
	s_addc_u32 s79, s79, 0
	s_waitcnt lgkmcnt(0)
	v_mul_hi_u32 v51, s17, v5
	v_add_u32_e32 v51, v5, v51
	v_lshrrev_b32_e32 v51, s18, v51
	v_mul_lo_u32 v52, v51, s16
	v_mul_hi_u32 v55, s20, v51
	v_sub_u32_e32 v5, v5, v52
	v_add_u32_e32 v52, v51, v55
	v_lshrrev_b32_e32 v52, s21, v52
	v_mul_lo_u32 v55, v52, s19
	v_mul_hi_u32 v84, s23, v52
	v_sub_u32_e32 v51, v51, v55
	v_add_u32_e32 v55, v52, v84
	v_mul_lo_u32 v5, v5, s40
	v_mul_lo_u32 v51, v51, s41
	v_lshrrev_b32_e32 v55, s36, v55
	v_add3_u32 v51, v5, v54, v51
	v_mul_lo_u32 v5, v55, s22
	v_mul_hi_u32 v54, s38, v55
	v_sub_u32_e32 v5, v52, v5
	v_add_u32_e32 v52, v55, v54
	v_mul_lo_u32 v54, v5, s42
	v_lshrrev_b32_e32 v5, s39, v52
	s_add_i32 s86, s86, 4
	v_mul_lo_u32 v52, v5, s37
	s_add_u32 s80, s80, 16
	v_sub_u32_e32 v52, v55, v52
	s_addc_u32 s81, s81, 0
	v_mul_lo_u32 v52, v52, s43
	s_cmp_lg_u32 s15, s86
	v_add3_u32 v54, v54, v51, v52
	s_cbranch_scc1 .LBB5_24
; %bb.25:                               ;   in Loop: Header=BB5_9 Depth=1
	s_mov_b32 s18, s15
	s_andn2_b64 vcc, exec, s[58:59]
	s_cbranch_vccz .LBB5_29
	s_branch .LBB5_31
.LBB5_26:                               ;   in Loop: Header=BB5_9 Depth=1
                                        ; implicit-def: $vgpr54
	s_branch .LBB5_32
.LBB5_27:                               ;   in Loop: Header=BB5_9 Depth=1
	v_mov_b32_e32 v54, 0
	s_branch .LBB5_31
.LBB5_28:                               ;   in Loop: Header=BB5_9 Depth=1
	v_mov_b32_e32 v5, v14
	s_andn2_b64 vcc, exec, s[58:59]
	s_cbranch_vccnz .LBB5_31
.LBB5_29:                               ;   in Loop: Header=BB5_9 Depth=1
	s_lshl_b32 s16, s18, 2
	s_add_u32 s16, s48, s16
	s_addc_u32 s17, s49, 0
	s_mul_i32 s18, s18, 12
	s_add_u32 s18, s34, s18
	s_addc_u32 s19, s35, 0
	s_mov_b32 s20, s13
.LBB5_30:                               ;   Parent Loop BB5_9 Depth=1
                                        ; =>  This Inner Loop Header: Depth=2
	s_load_dwordx2 s[22:23], s[18:19], 0x4
	s_load_dword s21, s[18:19], 0xc
	s_load_dword s36, s[16:17], 0x0
	s_add_u32 s18, s18, 12
	s_addc_u32 s19, s19, 0
	s_waitcnt lgkmcnt(0)
	v_mul_hi_u32 v51, s23, v5
	v_add_u32_e32 v51, v5, v51
	v_lshrrev_b32_e32 v51, s21, v51
	s_add_u32 s16, s16, 4
	v_mul_lo_u32 v52, v51, s22
	s_addc_u32 s17, s17, 0
	s_add_i32 s20, s20, -1
	v_sub_u32_e32 v52, v5, v52
	s_cmp_lg_u32 s20, 0
	v_mov_b32_e32 v5, v51
	v_mad_u64_u32 v[54:55], s[22:23], v52, s36, v[54:55]
	s_cbranch_scc1 .LBB5_30
.LBB5_31:                               ;   in Loop: Header=BB5_9 Depth=1
	s_cbranch_execnz .LBB5_34
.LBB5_32:                               ;   in Loop: Header=BB5_9 Depth=1
	v_mul_hi_u32 v5, v14, s10
	v_add_u32_e32 v5, v5, v14
	v_lshrrev_b32_e32 v5, s11, v5
	v_mul_lo_u32 v51, v5, s9
	v_sub_u32_e32 v51, v14, v51
	s_andn2_b64 vcc, exec, s[50:51]
	s_waitcnt lgkmcnt(0)
	v_mul_lo_u32 v54, v51, s52
	s_cbranch_vccnz .LBB5_34
; %bb.33:                               ;   in Loop: Header=BB5_9 Depth=1
	v_mul_hi_u32 v51, s8, v5
	v_add_u32_e32 v51, v5, v51
	v_lshrrev_b32_e32 v51, s14, v51
	v_mul_lo_u32 v51, v51, s12
	v_sub_u32_e32 v5, v5, v51
	v_mad_u64_u32 v[54:55], s[16:17], v5, s53, v[54:55]
.LBB5_34:                               ;   in Loop: Header=BB5_9 Depth=1
	v_xor_b32_e32 v52, v0, v53
	v_cndmask_b32_e64 v51, v11, v9, s[2:3]
	v_and_b32_e32 v52, 0x80000000, v52
	v_cndmask_b32_e64 v5, v10, v8, s[2:3]
	v_xor_b32_e32 v51, v51, v52
	v_cndmask_b32_e64 v52, 0, v5, s[0:1]
	v_cndmask_b32_e64 v53, v81, v51, s[0:1]
	v_mul_f64 v[52:53], v[6:7], v[52:53]
	v_cvt_f32_f64_e32 v5, v[52:53]
	s_waitcnt lgkmcnt(0)
	v_mov_b32_e32 v51, s30
	v_fma_f32 v5, s31, v5, v51
	global_store_dword v54, v5, s[28:29]
.LBB5_35:                               ;   in Loop: Header=BB5_9 Depth=1
	s_or_b64 exec, exec, s[6:7]
	v_mov_b32_e32 v5, s83
	v_add_co_u32_e32 v52, vcc, s33, v14
	v_addc_co_u32_e32 v53, vcc, v15, v5, vcc
	v_cmp_gt_i64_e32 vcc, s[24:25], v[52:53]
	s_and_saveexec_b64 s[40:41], vcc
	s_cbranch_execz .LBB5_8
; %bb.36:                               ;   in Loop: Header=BB5_9 Depth=1
	s_and_b64 vcc, exec, s[4:5]
	s_cbranch_vccnz .LBB5_42
; %bb.37:                               ;   in Loop: Header=BB5_9 Depth=1
	s_andn2_b64 vcc, exec, s[46:47]
	s_cbranch_vccnz .LBB5_43
; %bb.38:                               ;   in Loop: Header=BB5_9 Depth=1
	s_mov_b32 s6, 0
	s_andn2_b64 vcc, exec, s[54:55]
	v_mov_b32_e32 v54, 0
	s_cbranch_vccnz .LBB5_44
; %bb.39:                               ;   in Loop: Header=BB5_9 Depth=1
	s_mov_b32 s80, 0
	v_mov_b32_e32 v54, 0
	s_mov_b64 s[42:43], s[34:35]
	s_mov_b64 s[78:79], s[48:49]
	v_mov_b32_e32 v5, v52
.LBB5_40:                               ;   Parent Loop BB5_9 Depth=1
                                        ; =>  This Inner Loop Header: Depth=2
	s_load_dwordx8 s[16:23], s[42:43], 0x4
	s_load_dwordx4 s[4:7], s[42:43], 0x24
	s_load_dwordx4 s[36:39], s[78:79], 0x0
	s_add_u32 s42, s42, 48
	s_addc_u32 s43, s43, 0
	s_waitcnt lgkmcnt(0)
	v_mul_hi_u32 v51, s17, v5
	v_add_u32_e32 v51, v5, v51
	v_lshrrev_b32_e32 v51, s18, v51
	v_mul_lo_u32 v53, v51, s16
	v_mul_hi_u32 v55, s20, v51
	v_sub_u32_e32 v5, v5, v53
	v_add_u32_e32 v53, v51, v55
	v_lshrrev_b32_e32 v53, s21, v53
	v_mul_lo_u32 v55, v53, s19
	v_mul_hi_u32 v84, s23, v53
	v_sub_u32_e32 v51, v51, v55
	v_add_u32_e32 v55, v53, v84
	v_mul_lo_u32 v5, v5, s36
	v_mul_lo_u32 v51, v51, s37
	v_lshrrev_b32_e32 v55, s4, v55
	v_add3_u32 v51, v5, v54, v51
	v_mul_lo_u32 v5, v55, s22
	v_mul_hi_u32 v54, s6, v55
	v_sub_u32_e32 v5, v53, v5
	v_add_u32_e32 v53, v55, v54
	v_mul_lo_u32 v54, v5, s38
	v_lshrrev_b32_e32 v5, s7, v53
	s_add_i32 s80, s80, 4
	v_mul_lo_u32 v53, v5, s5
	s_add_u32 s78, s78, 16
	v_sub_u32_e32 v53, v55, v53
	s_addc_u32 s79, s79, 0
	v_mul_lo_u32 v53, v53, s39
	s_cmp_eq_u32 s15, s80
	v_add3_u32 v54, v54, v51, v53
	s_cbranch_scc0 .LBB5_40
; %bb.41:                               ;   in Loop: Header=BB5_9 Depth=1
	s_mov_b32 s6, s15
	s_andn2_b64 vcc, exec, s[58:59]
	s_cbranch_vccz .LBB5_45
	s_branch .LBB5_47
.LBB5_42:                               ;   in Loop: Header=BB5_9 Depth=1
                                        ; implicit-def: $vgpr54
	s_branch .LBB5_48
.LBB5_43:                               ;   in Loop: Header=BB5_9 Depth=1
	v_mov_b32_e32 v54, 0
	s_branch .LBB5_47
.LBB5_44:                               ;   in Loop: Header=BB5_9 Depth=1
	v_mov_b32_e32 v5, v52
	s_andn2_b64 vcc, exec, s[58:59]
	s_cbranch_vccnz .LBB5_47
.LBB5_45:                               ;   in Loop: Header=BB5_9 Depth=1
	s_lshl_b32 s4, s6, 2
	s_add_u32 s4, s48, s4
	s_addc_u32 s5, s49, 0
	s_mul_i32 s6, s6, 12
	s_add_u32 s6, s34, s6
	s_addc_u32 s7, s35, 0
	s_mov_b32 s16, s13
.LBB5_46:                               ;   Parent Loop BB5_9 Depth=1
                                        ; =>  This Inner Loop Header: Depth=2
	s_load_dwordx2 s[18:19], s[6:7], 0x4
	s_load_dword s17, s[6:7], 0xc
	s_load_dword s20, s[4:5], 0x0
	s_add_u32 s6, s6, 12
	s_addc_u32 s7, s7, 0
	s_waitcnt lgkmcnt(0)
	v_mul_hi_u32 v51, s19, v5
	v_add_u32_e32 v51, v5, v51
	v_lshrrev_b32_e32 v51, s17, v51
	s_add_u32 s4, s4, 4
	v_mul_lo_u32 v53, v51, s18
	s_addc_u32 s5, s5, 0
	s_add_i32 s16, s16, -1
	v_sub_u32_e32 v53, v5, v53
	s_cmp_lg_u32 s16, 0
	v_mov_b32_e32 v5, v51
	v_mad_u64_u32 v[54:55], s[18:19], v53, s20, v[54:55]
	s_cbranch_scc1 .LBB5_46
.LBB5_47:                               ;   in Loop: Header=BB5_9 Depth=1
	s_cbranch_execnz .LBB5_7
.LBB5_48:                               ;   in Loop: Header=BB5_9 Depth=1
	v_mul_hi_u32 v5, v52, s10
	v_add_u32_e32 v5, v5, v52
	v_lshrrev_b32_e32 v5, s11, v5
	v_mul_lo_u32 v51, v5, s9
	v_sub_u32_e32 v51, v52, v51
	s_andn2_b64 vcc, exec, s[50:51]
	s_waitcnt lgkmcnt(0)
	v_mul_lo_u32 v54, v51, s52
	s_cbranch_vccnz .LBB5_7
; %bb.49:                               ;   in Loop: Header=BB5_9 Depth=1
	v_mul_hi_u32 v51, s8, v5
	v_add_u32_e32 v51, v5, v51
	v_lshrrev_b32_e32 v51, s14, v51
	v_mul_lo_u32 v51, v51, s12
	v_sub_u32_e32 v5, v5, v51
	v_mad_u64_u32 v[54:55], s[4:5], v5, s53, v[54:55]
	s_branch .LBB5_7
.LBB5_50:
	s_endpgm
.LBB5_51:
                                        ; implicit-def: $sgpr2_sgpr3
	s_andn2_b64 vcc, exec, s[0:1]
	s_cbranch_vccz .LBB5_4
	s_branch .LBB5_5
	.section	.rodata,"a",@progbits
	.p2align	6, 0x0
	.amdhsa_kernel _ZN2at6native12_GLOBAL__N_143distribution_elementwise_grid_stride_kernelIfLi4EZNS0_9templates4cuda20normal_and_transformIffPNS_17CUDAGeneratorImplEZZZNS4_13normal_kernelIS7_EEvRKNS_10TensorBaseEddT_ENKUlvE_clEvENKUlvE0_clEvEUlfE_EEvRNS_18TensorIteratorBaseET1_T2_EUlP25hiprandStatePhilox4_32_10E_ZNS1_27distribution_nullary_kernelIff15HIP_vector_typeIdLj2EES7_SM_SF_EEvSH_SJ_RKT3_T4_EUlifE0_EEvlNS_15PhiloxCudaStateESI_SJ_
		.amdhsa_group_segment_fixed_size 0
		.amdhsa_private_segment_fixed_size 0
		.amdhsa_kernarg_size 584
		.amdhsa_user_sgpr_count 6
		.amdhsa_user_sgpr_private_segment_buffer 1
		.amdhsa_user_sgpr_dispatch_ptr 0
		.amdhsa_user_sgpr_queue_ptr 0
		.amdhsa_user_sgpr_kernarg_segment_ptr 1
		.amdhsa_user_sgpr_dispatch_id 0
		.amdhsa_user_sgpr_flat_scratch_init 0
		.amdhsa_user_sgpr_kernarg_preload_length 0
		.amdhsa_user_sgpr_kernarg_preload_offset 0
		.amdhsa_user_sgpr_private_segment_size 0
		.amdhsa_uses_dynamic_stack 0
		.amdhsa_system_sgpr_private_segment_wavefront_offset 0
		.amdhsa_system_sgpr_workgroup_id_x 1
		.amdhsa_system_sgpr_workgroup_id_y 0
		.amdhsa_system_sgpr_workgroup_id_z 0
		.amdhsa_system_sgpr_workgroup_info 0
		.amdhsa_system_vgpr_workitem_id 0
		.amdhsa_next_free_vgpr 94
		.amdhsa_next_free_sgpr 87
		.amdhsa_accum_offset 96
		.amdhsa_reserve_vcc 1
		.amdhsa_reserve_flat_scratch 0
		.amdhsa_float_round_mode_32 0
		.amdhsa_float_round_mode_16_64 0
		.amdhsa_float_denorm_mode_32 3
		.amdhsa_float_denorm_mode_16_64 3
		.amdhsa_dx10_clamp 1
		.amdhsa_ieee_mode 1
		.amdhsa_fp16_overflow 0
		.amdhsa_tg_split 0
		.amdhsa_exception_fp_ieee_invalid_op 0
		.amdhsa_exception_fp_denorm_src 0
		.amdhsa_exception_fp_ieee_div_zero 0
		.amdhsa_exception_fp_ieee_overflow 0
		.amdhsa_exception_fp_ieee_underflow 0
		.amdhsa_exception_fp_ieee_inexact 0
		.amdhsa_exception_int_div_zero 0
	.end_amdhsa_kernel
	.section	.text._ZN2at6native12_GLOBAL__N_143distribution_elementwise_grid_stride_kernelIfLi4EZNS0_9templates4cuda20normal_and_transformIffPNS_17CUDAGeneratorImplEZZZNS4_13normal_kernelIS7_EEvRKNS_10TensorBaseEddT_ENKUlvE_clEvENKUlvE0_clEvEUlfE_EEvRNS_18TensorIteratorBaseET1_T2_EUlP25hiprandStatePhilox4_32_10E_ZNS1_27distribution_nullary_kernelIff15HIP_vector_typeIdLj2EES7_SM_SF_EEvSH_SJ_RKT3_T4_EUlifE0_EEvlNS_15PhiloxCudaStateESI_SJ_,"axG",@progbits,_ZN2at6native12_GLOBAL__N_143distribution_elementwise_grid_stride_kernelIfLi4EZNS0_9templates4cuda20normal_and_transformIffPNS_17CUDAGeneratorImplEZZZNS4_13normal_kernelIS7_EEvRKNS_10TensorBaseEddT_ENKUlvE_clEvENKUlvE0_clEvEUlfE_EEvRNS_18TensorIteratorBaseET1_T2_EUlP25hiprandStatePhilox4_32_10E_ZNS1_27distribution_nullary_kernelIff15HIP_vector_typeIdLj2EES7_SM_SF_EEvSH_SJ_RKT3_T4_EUlifE0_EEvlNS_15PhiloxCudaStateESI_SJ_,comdat
.Lfunc_end5:
	.size	_ZN2at6native12_GLOBAL__N_143distribution_elementwise_grid_stride_kernelIfLi4EZNS0_9templates4cuda20normal_and_transformIffPNS_17CUDAGeneratorImplEZZZNS4_13normal_kernelIS7_EEvRKNS_10TensorBaseEddT_ENKUlvE_clEvENKUlvE0_clEvEUlfE_EEvRNS_18TensorIteratorBaseET1_T2_EUlP25hiprandStatePhilox4_32_10E_ZNS1_27distribution_nullary_kernelIff15HIP_vector_typeIdLj2EES7_SM_SF_EEvSH_SJ_RKT3_T4_EUlifE0_EEvlNS_15PhiloxCudaStateESI_SJ_, .Lfunc_end5-_ZN2at6native12_GLOBAL__N_143distribution_elementwise_grid_stride_kernelIfLi4EZNS0_9templates4cuda20normal_and_transformIffPNS_17CUDAGeneratorImplEZZZNS4_13normal_kernelIS7_EEvRKNS_10TensorBaseEddT_ENKUlvE_clEvENKUlvE0_clEvEUlfE_EEvRNS_18TensorIteratorBaseET1_T2_EUlP25hiprandStatePhilox4_32_10E_ZNS1_27distribution_nullary_kernelIff15HIP_vector_typeIdLj2EES7_SM_SF_EEvSH_SJ_RKT3_T4_EUlifE0_EEvlNS_15PhiloxCudaStateESI_SJ_
                                        ; -- End function
	.section	.AMDGPU.csdata,"",@progbits
; Kernel info:
; codeLenInByte = 4884
; NumSgprs: 91
; NumVgprs: 94
; NumAgprs: 0
; TotalNumVgprs: 94
; ScratchSize: 0
; MemoryBound: 0
; FloatMode: 240
; IeeeMode: 1
; LDSByteSize: 0 bytes/workgroup (compile time only)
; SGPRBlocks: 11
; VGPRBlocks: 11
; NumSGPRsForWavesPerEU: 91
; NumVGPRsForWavesPerEU: 94
; AccumOffset: 96
; Occupancy: 5
; WaveLimiterHint : 1
; COMPUTE_PGM_RSRC2:SCRATCH_EN: 0
; COMPUTE_PGM_RSRC2:USER_SGPR: 6
; COMPUTE_PGM_RSRC2:TRAP_HANDLER: 0
; COMPUTE_PGM_RSRC2:TGID_X_EN: 1
; COMPUTE_PGM_RSRC2:TGID_Y_EN: 0
; COMPUTE_PGM_RSRC2:TGID_Z_EN: 0
; COMPUTE_PGM_RSRC2:TIDIG_COMP_CNT: 0
; COMPUTE_PGM_RSRC3_GFX90A:ACCUM_OFFSET: 23
; COMPUTE_PGM_RSRC3_GFX90A:TG_SPLIT: 0
	.section	.text._ZN2at6native12_GLOBAL__N_143distribution_elementwise_grid_stride_kernelIfLi4EZNS0_9templates4cuda20normal_and_transformIffPNS_17CUDAGeneratorImplEZZZNS4_13normal_kernelIS7_EEvRKNS_10TensorBaseEddT_ENKUlvE_clEvENKUlvE0_clEvEUlfE_EEvRNS_18TensorIteratorBaseET1_T2_EUlP25hiprandStatePhilox4_32_10E0_ZNS1_27distribution_nullary_kernelIff15HIP_vector_typeIfLj4EES7_SM_SF_EEvSH_SJ_RKT3_T4_EUlifE_EEvlNS_15PhiloxCudaStateESI_SJ_,"axG",@progbits,_ZN2at6native12_GLOBAL__N_143distribution_elementwise_grid_stride_kernelIfLi4EZNS0_9templates4cuda20normal_and_transformIffPNS_17CUDAGeneratorImplEZZZNS4_13normal_kernelIS7_EEvRKNS_10TensorBaseEddT_ENKUlvE_clEvENKUlvE0_clEvEUlfE_EEvRNS_18TensorIteratorBaseET1_T2_EUlP25hiprandStatePhilox4_32_10E0_ZNS1_27distribution_nullary_kernelIff15HIP_vector_typeIfLj4EES7_SM_SF_EEvSH_SJ_RKT3_T4_EUlifE_EEvlNS_15PhiloxCudaStateESI_SJ_,comdat
	.globl	_ZN2at6native12_GLOBAL__N_143distribution_elementwise_grid_stride_kernelIfLi4EZNS0_9templates4cuda20normal_and_transformIffPNS_17CUDAGeneratorImplEZZZNS4_13normal_kernelIS7_EEvRKNS_10TensorBaseEddT_ENKUlvE_clEvENKUlvE0_clEvEUlfE_EEvRNS_18TensorIteratorBaseET1_T2_EUlP25hiprandStatePhilox4_32_10E0_ZNS1_27distribution_nullary_kernelIff15HIP_vector_typeIfLj4EES7_SM_SF_EEvSH_SJ_RKT3_T4_EUlifE_EEvlNS_15PhiloxCudaStateESI_SJ_ ; -- Begin function _ZN2at6native12_GLOBAL__N_143distribution_elementwise_grid_stride_kernelIfLi4EZNS0_9templates4cuda20normal_and_transformIffPNS_17CUDAGeneratorImplEZZZNS4_13normal_kernelIS7_EEvRKNS_10TensorBaseEddT_ENKUlvE_clEvENKUlvE0_clEvEUlfE_EEvRNS_18TensorIteratorBaseET1_T2_EUlP25hiprandStatePhilox4_32_10E0_ZNS1_27distribution_nullary_kernelIff15HIP_vector_typeIfLj4EES7_SM_SF_EEvSH_SJ_RKT3_T4_EUlifE_EEvlNS_15PhiloxCudaStateESI_SJ_
	.p2align	8
	.type	_ZN2at6native12_GLOBAL__N_143distribution_elementwise_grid_stride_kernelIfLi4EZNS0_9templates4cuda20normal_and_transformIffPNS_17CUDAGeneratorImplEZZZNS4_13normal_kernelIS7_EEvRKNS_10TensorBaseEddT_ENKUlvE_clEvENKUlvE0_clEvEUlfE_EEvRNS_18TensorIteratorBaseET1_T2_EUlP25hiprandStatePhilox4_32_10E0_ZNS1_27distribution_nullary_kernelIff15HIP_vector_typeIfLj4EES7_SM_SF_EEvSH_SJ_RKT3_T4_EUlifE_EEvlNS_15PhiloxCudaStateESI_SJ_,@function
_ZN2at6native12_GLOBAL__N_143distribution_elementwise_grid_stride_kernelIfLi4EZNS0_9templates4cuda20normal_and_transformIffPNS_17CUDAGeneratorImplEZZZNS4_13normal_kernelIS7_EEvRKNS_10TensorBaseEddT_ENKUlvE_clEvENKUlvE0_clEvEUlfE_EEvRNS_18TensorIteratorBaseET1_T2_EUlP25hiprandStatePhilox4_32_10E0_ZNS1_27distribution_nullary_kernelIff15HIP_vector_typeIfLj4EES7_SM_SF_EEvSH_SJ_RKT3_T4_EUlifE_EEvlNS_15PhiloxCudaStateESI_SJ_: ; @_ZN2at6native12_GLOBAL__N_143distribution_elementwise_grid_stride_kernelIfLi4EZNS0_9templates4cuda20normal_and_transformIffPNS_17CUDAGeneratorImplEZZZNS4_13normal_kernelIS7_EEvRKNS_10TensorBaseEddT_ENKUlvE_clEvENKUlvE0_clEvEUlfE_EEvRNS_18TensorIteratorBaseET1_T2_EUlP25hiprandStatePhilox4_32_10E0_ZNS1_27distribution_nullary_kernelIff15HIP_vector_typeIfLj4EES7_SM_SF_EEvSH_SJ_RKT3_T4_EUlifE_EEvlNS_15PhiloxCudaStateESI_SJ_
; %bb.0:
	s_load_dword s2, s[4:5], 0x20
	s_load_dwordx2 s[0:1], s[4:5], 0x10
	s_load_dwordx4 s[8:11], s[4:5], 0x0
	s_waitcnt lgkmcnt(0)
	s_bitcmp0_b32 s2, 0
	s_mov_b32 s2, 0
	v_pk_mov_b32 v[2:3], s[0:1], s[0:1] op_sel:[0,1]
	v_pk_mov_b32 v[14:15], s[10:11], s[10:11] op_sel:[0,1]
	s_cbranch_scc1 .LBB6_2
; %bb.1:
	v_pk_mov_b32 v[2:3], s[0:1], s[0:1] op_sel:[0,1]
	flat_load_dwordx2 v[2:3], v[2:3]
	v_pk_mov_b32 v[4:5], s[10:11], s[10:11] op_sel:[0,1]
	flat_load_dwordx2 v[14:15], v[4:5]
	s_load_dwordx2 s[0:1], s[4:5], 0x18
	s_waitcnt lgkmcnt(0)
	v_mov_b32_e32 v1, s1
	s_waitcnt vmcnt(0)
	v_add_co_u32_e32 v2, vcc, s0, v2
	v_addc_co_u32_e32 v3, vcc, v3, v1, vcc
.LBB6_2:
	s_load_dword s0, s[4:5], 0x54
	s_load_dword s25, s[4:5], 0x48
	s_waitcnt lgkmcnt(0)
	s_and_b32 s7, s0, 0xffff
	s_add_u32 s10, s8, -1
	s_mul_i32 s16, s25, s7
	s_addc_u32 s3, s9, -1
	s_lshl_b32 s17, s16, 2
	s_cmp_lg_u64 s[2:3], 0
	s_mov_b64 s[0:1], -1
	s_cbranch_scc0 .LBB6_27
; %bb.3:
	v_cvt_f32_u32_e32 v1, s17
	v_cvt_f32_ubyte0_e32 v4, 0
	s_sub_u32 s2, 0, s17
	s_subb_u32 s11, 0, 0
	v_madmk_f32 v1, v4, 0x4f800000, v1
	v_rcp_f32_e32 v1, v1
	v_mul_f32_e32 v1, 0x5f7ffffc, v1
	v_mul_f32_e32 v4, 0x2f800000, v1
	v_trunc_f32_e32 v4, v4
	v_madmk_f32 v1, v4, 0xcf800000, v1
	v_cvt_u32_f32_e32 v4, v4
	v_cvt_u32_f32_e32 v1, v1
	v_readfirstlane_b32 s12, v4
	v_readfirstlane_b32 s13, v1
	s_mul_i32 s14, s2, s12
	s_mul_hi_u32 s18, s2, s13
	s_mul_i32 s15, s11, s13
	s_add_i32 s14, s18, s14
	s_add_i32 s14, s14, s15
	s_mul_i32 s19, s2, s13
	s_mul_hi_u32 s15, s13, s14
	s_mul_i32 s18, s13, s14
	s_mul_hi_u32 s13, s13, s19
	s_add_u32 s13, s13, s18
	s_addc_u32 s15, 0, s15
	s_mul_hi_u32 s20, s12, s19
	s_mul_i32 s19, s12, s19
	s_add_u32 s13, s13, s19
	s_mul_hi_u32 s18, s12, s14
	s_addc_u32 s13, s15, s20
	s_addc_u32 s15, s18, 0
	s_mul_i32 s14, s12, s14
	s_add_u32 s13, s13, s14
	s_addc_u32 s14, 0, s15
	v_add_co_u32_e32 v1, vcc, s13, v1
	s_cmp_lg_u64 vcc, 0
	s_addc_u32 s12, s12, s14
	v_readfirstlane_b32 s14, v1
	s_mul_i32 s13, s2, s12
	s_mul_hi_u32 s15, s2, s14
	s_add_i32 s13, s15, s13
	s_mul_i32 s11, s11, s14
	s_add_i32 s13, s13, s11
	s_mul_i32 s2, s2, s14
	s_mul_hi_u32 s15, s12, s2
	s_mul_i32 s18, s12, s2
	s_mul_i32 s20, s14, s13
	s_mul_hi_u32 s2, s14, s2
	s_mul_hi_u32 s19, s14, s13
	s_add_u32 s2, s2, s20
	s_addc_u32 s14, 0, s19
	s_add_u32 s2, s2, s18
	s_mul_hi_u32 s11, s12, s13
	s_addc_u32 s2, s14, s15
	s_addc_u32 s11, s11, 0
	s_mul_i32 s13, s12, s13
	s_add_u32 s2, s2, s13
	s_addc_u32 s11, 0, s11
	v_add_co_u32_e32 v1, vcc, s2, v1
	s_cmp_lg_u64 vcc, 0
	s_addc_u32 s11, s12, s11
	s_ashr_i32 s12, s3, 31
	s_add_u32 s2, s10, s12
	s_mov_b32 s13, s12
	s_addc_u32 s3, s3, s12
	s_xor_b64 s[2:3], s[2:3], s[12:13]
	v_readfirstlane_b32 s18, v1
	s_mul_i32 s15, s2, s11
	s_mul_hi_u32 s19, s2, s18
	s_mul_hi_u32 s14, s2, s11
	s_add_u32 s15, s19, s15
	s_addc_u32 s14, 0, s14
	s_mul_hi_u32 s20, s3, s18
	s_mul_i32 s18, s3, s18
	s_add_u32 s15, s15, s18
	s_mul_hi_u32 s19, s3, s11
	s_addc_u32 s14, s14, s20
	s_addc_u32 s15, s19, 0
	s_mul_i32 s11, s3, s11
	s_add_u32 s11, s14, s11
	s_addc_u32 s14, 0, s15
	s_add_u32 s15, s11, 1
	s_addc_u32 s18, s14, 0
	s_add_u32 s19, s11, 2
	s_mul_i32 s21, s17, s14
	s_mul_hi_u32 s22, s17, s11
	s_addc_u32 s20, s14, 0
	s_add_i32 s22, s22, s21
	s_mul_i32 s21, s17, s11
	v_mov_b32_e32 v1, s21
	v_sub_co_u32_e32 v1, vcc, s2, v1
	s_cmp_lg_u64 vcc, 0
	s_subb_u32 s2, s3, s22
	v_subrev_co_u32_e32 v4, vcc, s17, v1
	s_cmp_lg_u64 vcc, 0
	s_subb_u32 s3, s2, 0
	v_readfirstlane_b32 s21, v4
	s_cmp_ge_u32 s21, s17
	s_cselect_b32 s21, -1, 0
	s_cmp_eq_u32 s3, 0
	s_cselect_b32 s3, s21, -1
	s_cmp_lg_u32 s3, 0
	s_cselect_b32 s3, s20, s18
	v_readfirstlane_b32 s18, v1
	s_cselect_b32 s15, s19, s15
	s_cmp_ge_u32 s18, s17
	s_cselect_b32 s18, -1, 0
	s_cmp_eq_u32 s2, 0
	s_cselect_b32 s2, s18, -1
	s_cmp_lg_u32 s2, 0
	s_cselect_b32 s3, s3, s14
	s_cselect_b32 s2, s15, s11
	s_xor_b64 s[2:3], s[2:3], s[12:13]
	s_sub_u32 s2, s2, s12
	s_subb_u32 s3, s3, s12
	s_cbranch_execnz .LBB6_5
.LBB6_4:
	v_cvt_f32_u32_e32 v1, s17
	s_sub_i32 s0, 0, s17
	s_mov_b32 s3, 0
	v_rcp_iflag_f32_e32 v1, v1
	v_mul_f32_e32 v1, 0x4f7ffffe, v1
	v_cvt_u32_f32_e32 v1, v1
	v_readfirstlane_b32 s1, v1
	s_mul_i32 s0, s0, s1
	s_mul_hi_u32 s0, s1, s0
	s_add_i32 s1, s1, s0
	s_mul_hi_u32 s0, s10, s1
	s_mul_i32 s2, s0, s17
	s_sub_i32 s2, s10, s2
	s_add_i32 s1, s0, 1
	s_sub_i32 s10, s2, s17
	s_cmp_ge_u32 s2, s17
	s_cselect_b32 s0, s1, s0
	s_cselect_b32 s2, s10, s2
	s_add_i32 s1, s0, 1
	s_cmp_ge_u32 s2, s17
	s_cselect_b32 s2, s1, s0
.LBB6_5:
	v_mov_b32_e32 v1, 0
	v_mov_b32_e32 v4, s6
	v_mad_u64_u32 v[16:17], s[0:1], s7, v4, v[0:1]
	s_add_u32 s0, s2, 1
	s_addc_u32 s1, s3, 0
	s_mul_hi_u32 s2, s25, s7
	s_mul_i32 s1, s16, s1
	s_mul_hi_u32 s3, s16, s0
	s_add_i32 s1, s3, s1
	s_mul_i32 s2, s2, s0
	s_add_i32 s1, s1, s2
	s_mul_i32 s0, s16, s0
	s_lshl_b64 s[2:3], s[0:1], 2
	v_cmp_gt_i64_e32 vcc, s[2:3], v[16:17]
	s_and_saveexec_b64 s[0:1], vcc
	s_cbranch_execz .LBB6_26
; %bb.6:
	s_mov_b32 s0, 0x5384540f
	v_mov_b32_e32 v4, v15
	v_add_co_u32_e32 v22, vcc, s0, v14
	s_mov_b32 s0, 0x646e171e
	v_add_co_u32_e32 v23, vcc, s0, v4
	s_mov_b32 s0, 0x1715609d
	;; [unrolled: 2-line block ×6, first 2 shown]
	v_alignbit_b32 v29, v3, v2, 2
	s_mov_b32 s18, 0xd2511f53
	v_add_co_u32_e32 v28, vcc, s0, v14
	v_mad_u64_u32 v[6:7], s[0:1], v29, s18, 0
	v_xor_b32_e32 v1, v7, v15
	v_xor_b32_e32 v1, v1, v17
	s_mov_b32 s19, 0xcd9e8d57
	v_mad_u64_u32 v[8:9], s[0:1], v1, s19, 0
	v_xor_b32_e32 v1, v28, v9
	v_mad_u64_u32 v[10:11], s[0:1], v16, s19, 0
	v_and_b32_e32 v18, 3, v2
	v_xor_b32_e32 v1, v1, v10
	v_xor_b32_e32 v2, v14, v11
	v_lshrrev_b32_e32 v30, 2, v3
	v_mad_u64_u32 v[12:13], s[0:1], v1, s18, 0
	v_xor_b32_e32 v2, v2, v30
	v_xor_b32_e32 v1, v27, v13
	v_mad_u64_u32 v[2:3], s[0:1], v2, s18, 0
	v_xor_b32_e32 v1, v1, v2
	v_mad_u64_u32 v[10:11], s[0:1], v1, s19, 0
	s_mov_b32 s0, 0xbb67ae85
	v_add_co_u32_e32 v31, vcc, s0, v4
	v_xor_b32_e32 v2, v31, v3
	v_xor_b32_e32 v2, v2, v6
	v_xor_b32_e32 v1, v26, v11
	v_mad_u64_u32 v[2:3], s[0:1], v2, s19, 0
	v_xor_b32_e32 v1, v1, v2
	v_mad_u64_u32 v[6:7], s[0:1], v1, s18, 0
	s_mov_b32 s0, 0x3c6ef372
	v_add_co_u32_e32 v32, vcc, s0, v14
	v_xor_b32_e32 v2, v32, v3
	;; [unrolled: 8-line block ×6, first 2 shown]
	v_add_co_u32_e32 v21, vcc, 0xdb3d7428, v4
	v_xor_b32_e32 v2, v2, v8
	v_xor_b32_e32 v1, v21, v7
	v_mad_u64_u32 v[2:3], s[0:1], v2, s18, 0
	v_xor_b32_e32 v1, v1, v2
	v_mad_u64_u32 v[8:9], s[0:1], v1, s19, 0
	s_mov_b32 s0, 0x1fd5c5a3
	v_add_co_u32_e32 v37, vcc, s0, v4
	v_xor_b32_e32 v1, v37, v3
	v_xor_b32_e32 v1, v1, v12
	v_mad_u64_u32 v[2:3], s[0:1], v1, s19, 0
	s_mov_b32 s0, 0xf1bbcdc8
	v_add_u32_e32 v19, 0x8ff34781, v14
	v_xor_b32_e32 v1, v9, v2
	v_add_co_u32_e32 v38, vcc, s0, v14
	s_load_dwordx4 s[12:15], s[4:5], 0x38
	s_load_dwordx2 s[10:11], s[4:5], 0x30
	v_xor_b32_e32 v2, v19, v1
	v_xor_b32_e32 v1, v38, v3
	v_xor_b32_e32 v1, v1, v10
	v_mad_u64_u32 v[10:11], s[0:1], v1, s18, 0
	v_add_u32_e32 v20, 0x96a522ad, v15
	v_xor_b32_e32 v1, v11, v6
	s_mul_i32 s0, s6, s7
	v_xor_b32_e32 v4, v20, v1
	v_add_u32_e32 v1, s0, v0
	s_waitcnt lgkmcnt(0)
	s_mul_i32 s0, s25, s12
	s_mul_i32 s0, s0, s7
	s_lshl_b32 s24, s0, 2
	s_mul_i32 s0, s25, 3
	s_add_i32 s0, s6, s0
	s_mul_i32 s0, s0, s7
	v_mul_lo_u32 v39, s12, v1
	v_add_u32_e32 v1, s0, v0
	s_lshl_b32 s0, s25, 1
	s_add_i32 s0, s6, s0
	s_mul_i32 s0, s0, s7
	v_mul_lo_u32 v40, s12, v1
	v_add_u32_e32 v1, s0, v0
	s_add_i32 s0, s6, s25
	s_mul_i32 s0, s0, s7
	s_mov_b32 s15, 0
	v_add_u32_e32 v0, s0, v0
	v_mov_b32_e32 v3, v8
	v_mov_b32_e32 v5, v10
	s_lshl_b32 s20, s16, 1
	s_mov_b32 s21, s15
	s_mul_i32 s22, s16, 3
	s_mov_b32 s23, s15
	v_mul_lo_u32 v41, s12, v1
	v_mul_lo_u32 v42, s12, v0
	s_mov_b64 s[4:5], 0
	s_mov_b32 s12, 0x800000
	s_mov_b32 s25, 0x3f317217
	;; [unrolled: 1-line block ×4, first 2 shown]
	v_mov_b32_e32 v43, 0x260
	v_mov_b32_e32 v44, 0x4f800000
	;; [unrolled: 1-line block ×3, first 2 shown]
	s_mov_b32 s28, s15
	v_mov_b32_e32 v46, v16
	v_mov_b32_e32 v47, v17
	s_branch .LBB6_8
.LBB6_7:                                ;   in Loop: Header=BB6_8 Depth=1
	s_or_b64 exec, exec, s[0:1]
	v_add_co_u32_e32 v16, vcc, s17, v16
	v_addc_co_u32_e32 v17, vcc, 0, v17, vcc
	v_mov_b32_e32 v9, v0
	s_add_i32 s28, s28, s24
	v_cmp_le_i64_e32 vcc, s[2:3], v[16:17]
	v_pk_mov_b32 v[2:3], v[6:7], v[6:7] op_sel:[0,1]
	s_or_b64 s[4:5], vcc, s[4:5]
	v_pk_mov_b32 v[4:5], v[8:9], v[8:9] op_sel:[0,1]
	s_barrier
	s_andn2_b64 exec, exec, s[4:5]
	s_cbranch_execz .LBB6_26
.LBB6_8:                                ; =>This Inner Loop Header: Depth=1
	v_add_co_u32_e32 v29, vcc, 1, v29
	v_cndmask_b32_e64 v0, 0, 1, vcc
	v_addc_co_u32_e32 v30, vcc, 0, v30, vcc
	v_cmp_eq_u32_e32 vcc, 0, v30
	v_cndmask_b32_e32 v0, 0, v0, vcc
	v_add_u32_e32 v46, v0, v46
	v_cmp_eq_u32_e32 vcc, 0, v46
	v_cndmask_b32_e32 v0, 0, v0, vcc
	v_add_u32_e32 v47, v0, v47
	v_mad_u64_u32 v[0:1], s[0:1], v29, s18, 0
	v_mad_u64_u32 v[6:7], s[0:1], v46, s19, 0
	v_xor_b32_e32 v1, v1, v15
	v_xor_b32_e32 v7, v7, v14
	v_xor_b32_e32 v1, v47, v1
	v_xor_b32_e32 v7, v30, v7
	v_mad_u64_u32 v[10:11], s[0:1], v1, s19, 0
	v_mad_u64_u32 v[8:9], s[0:1], v7, s18, 0
	v_xor_b32_e32 v1, v28, v11
	v_xor_b32_e32 v1, v1, v6
	v_xor_b32_e32 v6, v31, v9
	v_xor_b32_e32 v6, v6, v0
	;; [unrolled: 6-line block ×10, first 2 shown]
	v_mov_b32_e32 v7, v12
	v_mov_b32_e32 v8, v13
	v_cmp_lt_i32_e32 vcc, 1, v18
	s_and_saveexec_b64 s[0:1], vcc
	s_xor_b64 s[0:1], exec, s[0:1]
	s_cbranch_execz .LBB6_14
; %bb.9:                                ;   in Loop: Header=BB6_8 Depth=1
	v_cmp_lt_i32_e32 vcc, 2, v18
	s_and_saveexec_b64 s[6:7], vcc
	s_xor_b64 s[6:7], exec, s[6:7]
; %bb.10:                               ;   in Loop: Header=BB6_8 Depth=1
	v_mov_b32_e32 v10, v5
	v_mov_b32_e32 v11, v6
	v_pk_mov_b32 v[2:3], v[10:11], v[10:11] op_sel:[0,1]
	v_pk_mov_b32 v[4:5], v[12:13], v[12:13] op_sel:[0,1]
                                        ; implicit-def: $vgpr12_vgpr13
; %bb.11:                               ;   in Loop: Header=BB6_8 Depth=1
	s_andn2_saveexec_b64 s[6:7], s[6:7]
; %bb.12:                               ;   in Loop: Header=BB6_8 Depth=1
	v_mov_b32_e32 v2, v4
	v_mov_b32_e32 v3, v5
	v_mov_b32_e32 v4, v6
	v_mov_b32_e32 v5, v12
; %bb.13:                               ;   in Loop: Header=BB6_8 Depth=1
	s_or_b64 exec, exec, s[6:7]
.LBB6_14:                               ;   in Loop: Header=BB6_8 Depth=1
	s_andn2_saveexec_b64 s[0:1], s[0:1]
	s_cbranch_execz .LBB6_18
; %bb.15:                               ;   in Loop: Header=BB6_8 Depth=1
	v_cmp_eq_u32_e32 vcc, 1, v18
	s_and_saveexec_b64 s[6:7], vcc
; %bb.16:                               ;   in Loop: Header=BB6_8 Depth=1
	v_mov_b32_e32 v2, v3
	v_mov_b32_e32 v3, v4
	;; [unrolled: 1-line block ×4, first 2 shown]
; %bb.17:                               ;   in Loop: Header=BB6_8 Depth=1
	s_or_b64 exec, exec, s[6:7]
.LBB6_18:                               ;   in Loop: Header=BB6_8 Depth=1
	s_or_b64 exec, exec, s[0:1]
	v_cvt_f32_u32_e32 v1, v2
	v_mov_b32_e32 v2, 0x2f800000
	v_fmac_f32_e32 v2, 0x2f800000, v1
	v_cmp_gt_f32_e32 vcc, s12, v2
	v_cndmask_b32_e32 v1, 1.0, v44, vcc
	v_mul_f32_e32 v1, v2, v1
	v_log_f32_e32 v1, v1
	v_cvt_f32_u32_e32 v2, v3
	v_cndmask_b32_e32 v3, 0, v45, vcc
	v_mul_f32_e32 v9, 0x3f317217, v1
	v_fma_f32 v10, v1, s25, -v9
	v_fmac_f32_e32 v10, 0x3377d1cf, v1
	v_add_f32_e32 v9, v9, v10
	v_cmp_lt_f32_e64 vcc, |v1|, s26
	v_cndmask_b32_e32 v1, v1, v9, vcc
	v_sub_f32_e32 v1, v1, v3
	v_mul_f32_e32 v1, -2.0, v1
	v_mul_f32_e32 v3, 0x4f800000, v1
	v_cmp_gt_f32_e32 vcc, s27, v1
	v_cndmask_b32_e32 v1, v1, v3, vcc
	v_sqrt_f32_e32 v3, v1
	v_mov_b32_e32 v9, 0x30c90fdb
	v_fmac_f32_e32 v9, 0x30c90fdb, v2
	v_add_u32_e32 v2, -1, v3
	v_fma_f32 v10, -v2, v3, v1
	v_cmp_ge_f32_e64 s[0:1], 0, v10
	v_add_u32_e32 v10, 1, v3
	v_cndmask_b32_e64 v2, v3, v2, s[0:1]
	v_fma_f32 v3, -v10, v3, v1
	v_cmp_lt_f32_e64 s[0:1], 0, v3
	v_cndmask_b32_e64 v2, v2, v10, s[0:1]
	v_mul_f32_e32 v3, 0x37800000, v2
	v_cndmask_b32_e32 v2, v2, v3, vcc
	v_cmp_class_f32_e32 vcc, v1, v43
	v_cndmask_b32_e32 v1, v2, v1, vcc
	v_cmp_gt_i64_e32 vcc, s[8:9], v[16:17]
	v_mul_f32_e32 v2, 0.15915494, v9
	s_and_saveexec_b64 s[0:1], vcc
	s_cbranch_execz .LBB6_20
; %bb.19:                               ;   in Loop: Header=BB6_8 Depth=1
	v_sin_f32_e32 v3, v2
	v_add_u32_e32 v9, s28, v39
	v_mov_b32_e32 v11, s11
	v_ashrrev_i32_e32 v12, 31, v9
	v_mul_f32_e32 v3, v3, v1
	v_add_co_u32_e32 v10, vcc, s10, v9
	v_mov_b32_e32 v9, s13
	v_addc_co_u32_e32 v11, vcc, v11, v12, vcc
	v_fma_f32 v3, s14, v3, v9
	global_store_dword v[10:11], v3, off
.LBB6_20:                               ;   in Loop: Header=BB6_8 Depth=1
	s_or_b64 exec, exec, s[0:1]
	v_mov_b32_e32 v3, s15
	v_add_co_u32_e32 v10, vcc, s16, v16
	v_addc_co_u32_e32 v11, vcc, v3, v17, vcc
	v_cmp_gt_i64_e32 vcc, s[8:9], v[10:11]
	s_and_saveexec_b64 s[0:1], vcc
	s_cbranch_execz .LBB6_22
; %bb.21:                               ;   in Loop: Header=BB6_8 Depth=1
	v_cos_f32_e32 v2, v2
	v_add_u32_e32 v3, s28, v42
	v_mov_b32_e32 v9, s11
	v_ashrrev_i32_e32 v10, 31, v3
	v_mul_f32_e32 v1, v2, v1
	v_add_co_u32_e32 v2, vcc, s10, v3
	v_addc_co_u32_e32 v3, vcc, v9, v10, vcc
	v_mov_b32_e32 v9, s13
	v_fma_f32 v1, s14, v1, v9
	global_store_dword v[2:3], v1, off
.LBB6_22:                               ;   in Loop: Header=BB6_8 Depth=1
	s_or_b64 exec, exec, s[0:1]
	v_cvt_f32_u32_e32 v1, v4
	v_mov_b32_e32 v2, 0x2f800000
	v_fmac_f32_e32 v2, 0x2f800000, v1
	v_cmp_gt_f32_e32 vcc, s12, v2
	v_cndmask_b32_e32 v1, 1.0, v44, vcc
	v_mul_f32_e32 v1, v2, v1
	v_log_f32_e32 v1, v1
	v_cvt_f32_u32_e32 v2, v5
	v_cndmask_b32_e32 v3, 0, v45, vcc
	v_mul_f32_e32 v4, 0x3f317217, v1
	v_fma_f32 v5, v1, s25, -v4
	v_fmac_f32_e32 v5, 0x3377d1cf, v1
	v_add_f32_e32 v4, v4, v5
	v_cmp_lt_f32_e64 vcc, |v1|, s26
	v_cndmask_b32_e32 v1, v1, v4, vcc
	v_sub_f32_e32 v1, v1, v3
	v_mul_f32_e32 v1, -2.0, v1
	v_mul_f32_e32 v3, 0x4f800000, v1
	v_cmp_gt_f32_e32 vcc, s27, v1
	v_cndmask_b32_e32 v1, v1, v3, vcc
	v_sqrt_f32_e32 v3, v1
	v_mov_b32_e32 v4, 0x30c90fdb
	v_fmac_f32_e32 v4, 0x30c90fdb, v2
	v_add_u32_e32 v2, -1, v3
	v_fma_f32 v5, -v2, v3, v1
	v_cmp_ge_f32_e64 s[0:1], 0, v5
	v_add_u32_e32 v5, 1, v3
	v_cndmask_b32_e64 v2, v3, v2, s[0:1]
	v_fma_f32 v3, -v5, v3, v1
	v_cmp_lt_f32_e64 s[0:1], 0, v3
	v_cndmask_b32_e64 v2, v2, v5, s[0:1]
	v_mul_f32_e32 v3, 0x37800000, v2
	v_cndmask_b32_e32 v2, v2, v3, vcc
	v_cmp_class_f32_e32 vcc, v1, v43
	v_cndmask_b32_e32 v1, v2, v1, vcc
	v_mov_b32_e32 v3, s21
	v_add_co_u32_e32 v2, vcc, s20, v16
	v_addc_co_u32_e32 v3, vcc, v3, v17, vcc
	v_cmp_gt_i64_e32 vcc, s[8:9], v[2:3]
	v_mul_f32_e32 v2, 0.15915494, v4
	s_and_saveexec_b64 s[0:1], vcc
	s_cbranch_execz .LBB6_24
; %bb.23:                               ;   in Loop: Header=BB6_8 Depth=1
	v_sin_f32_e32 v3, v2
	v_add_u32_e32 v4, s28, v41
	v_mov_b32_e32 v5, s11
	v_ashrrev_i32_e32 v9, 31, v4
	v_add_co_u32_e32 v4, vcc, s10, v4
	v_mul_f32_e32 v3, v3, v1
	v_addc_co_u32_e32 v5, vcc, v5, v9, vcc
	v_mov_b32_e32 v9, s13
	v_fma_f32 v3, s14, v3, v9
	global_store_dword v[4:5], v3, off
.LBB6_24:                               ;   in Loop: Header=BB6_8 Depth=1
	s_or_b64 exec, exec, s[0:1]
	v_mov_b32_e32 v3, s23
	v_add_co_u32_e32 v4, vcc, s22, v16
	v_addc_co_u32_e32 v5, vcc, v3, v17, vcc
	v_cmp_gt_i64_e32 vcc, s[8:9], v[4:5]
	s_and_saveexec_b64 s[0:1], vcc
	s_cbranch_execz .LBB6_7
; %bb.25:                               ;   in Loop: Header=BB6_8 Depth=1
	v_cos_f32_e32 v2, v2
	v_add_u32_e32 v3, s28, v40
	v_mov_b32_e32 v4, s11
	v_ashrrev_i32_e32 v5, 31, v3
	v_mul_f32_e32 v1, v2, v1
	v_add_co_u32_e32 v2, vcc, s10, v3
	v_addc_co_u32_e32 v3, vcc, v4, v5, vcc
	v_mov_b32_e32 v4, s13
	v_fma_f32 v1, s14, v1, v4
	global_store_dword v[2:3], v1, off
	s_branch .LBB6_7
.LBB6_26:
	s_endpgm
.LBB6_27:
                                        ; implicit-def: $sgpr2_sgpr3
	s_andn2_b64 vcc, exec, s[0:1]
	s_cbranch_vccz .LBB6_4
	s_branch .LBB6_5
	.section	.rodata,"a",@progbits
	.p2align	6, 0x0
	.amdhsa_kernel _ZN2at6native12_GLOBAL__N_143distribution_elementwise_grid_stride_kernelIfLi4EZNS0_9templates4cuda20normal_and_transformIffPNS_17CUDAGeneratorImplEZZZNS4_13normal_kernelIS7_EEvRKNS_10TensorBaseEddT_ENKUlvE_clEvENKUlvE0_clEvEUlfE_EEvRNS_18TensorIteratorBaseET1_T2_EUlP25hiprandStatePhilox4_32_10E0_ZNS1_27distribution_nullary_kernelIff15HIP_vector_typeIfLj4EES7_SM_SF_EEvSH_SJ_RKT3_T4_EUlifE_EEvlNS_15PhiloxCudaStateESI_SJ_
		.amdhsa_group_segment_fixed_size 0
		.amdhsa_private_segment_fixed_size 0
		.amdhsa_kernarg_size 328
		.amdhsa_user_sgpr_count 6
		.amdhsa_user_sgpr_private_segment_buffer 1
		.amdhsa_user_sgpr_dispatch_ptr 0
		.amdhsa_user_sgpr_queue_ptr 0
		.amdhsa_user_sgpr_kernarg_segment_ptr 1
		.amdhsa_user_sgpr_dispatch_id 0
		.amdhsa_user_sgpr_flat_scratch_init 0
		.amdhsa_user_sgpr_kernarg_preload_length 0
		.amdhsa_user_sgpr_kernarg_preload_offset 0
		.amdhsa_user_sgpr_private_segment_size 0
		.amdhsa_uses_dynamic_stack 0
		.amdhsa_system_sgpr_private_segment_wavefront_offset 0
		.amdhsa_system_sgpr_workgroup_id_x 1
		.amdhsa_system_sgpr_workgroup_id_y 0
		.amdhsa_system_sgpr_workgroup_id_z 0
		.amdhsa_system_sgpr_workgroup_info 0
		.amdhsa_system_vgpr_workitem_id 0
		.amdhsa_next_free_vgpr 50
		.amdhsa_next_free_sgpr 29
		.amdhsa_accum_offset 52
		.amdhsa_reserve_vcc 1
		.amdhsa_reserve_flat_scratch 0
		.amdhsa_float_round_mode_32 0
		.amdhsa_float_round_mode_16_64 0
		.amdhsa_float_denorm_mode_32 3
		.amdhsa_float_denorm_mode_16_64 3
		.amdhsa_dx10_clamp 1
		.amdhsa_ieee_mode 1
		.amdhsa_fp16_overflow 0
		.amdhsa_tg_split 0
		.amdhsa_exception_fp_ieee_invalid_op 0
		.amdhsa_exception_fp_denorm_src 0
		.amdhsa_exception_fp_ieee_div_zero 0
		.amdhsa_exception_fp_ieee_overflow 0
		.amdhsa_exception_fp_ieee_underflow 0
		.amdhsa_exception_fp_ieee_inexact 0
		.amdhsa_exception_int_div_zero 0
	.end_amdhsa_kernel
	.section	.text._ZN2at6native12_GLOBAL__N_143distribution_elementwise_grid_stride_kernelIfLi4EZNS0_9templates4cuda20normal_and_transformIffPNS_17CUDAGeneratorImplEZZZNS4_13normal_kernelIS7_EEvRKNS_10TensorBaseEddT_ENKUlvE_clEvENKUlvE0_clEvEUlfE_EEvRNS_18TensorIteratorBaseET1_T2_EUlP25hiprandStatePhilox4_32_10E0_ZNS1_27distribution_nullary_kernelIff15HIP_vector_typeIfLj4EES7_SM_SF_EEvSH_SJ_RKT3_T4_EUlifE_EEvlNS_15PhiloxCudaStateESI_SJ_,"axG",@progbits,_ZN2at6native12_GLOBAL__N_143distribution_elementwise_grid_stride_kernelIfLi4EZNS0_9templates4cuda20normal_and_transformIffPNS_17CUDAGeneratorImplEZZZNS4_13normal_kernelIS7_EEvRKNS_10TensorBaseEddT_ENKUlvE_clEvENKUlvE0_clEvEUlfE_EEvRNS_18TensorIteratorBaseET1_T2_EUlP25hiprandStatePhilox4_32_10E0_ZNS1_27distribution_nullary_kernelIff15HIP_vector_typeIfLj4EES7_SM_SF_EEvSH_SJ_RKT3_T4_EUlifE_EEvlNS_15PhiloxCudaStateESI_SJ_,comdat
.Lfunc_end6:
	.size	_ZN2at6native12_GLOBAL__N_143distribution_elementwise_grid_stride_kernelIfLi4EZNS0_9templates4cuda20normal_and_transformIffPNS_17CUDAGeneratorImplEZZZNS4_13normal_kernelIS7_EEvRKNS_10TensorBaseEddT_ENKUlvE_clEvENKUlvE0_clEvEUlfE_EEvRNS_18TensorIteratorBaseET1_T2_EUlP25hiprandStatePhilox4_32_10E0_ZNS1_27distribution_nullary_kernelIff15HIP_vector_typeIfLj4EES7_SM_SF_EEvSH_SJ_RKT3_T4_EUlifE_EEvlNS_15PhiloxCudaStateESI_SJ_, .Lfunc_end6-_ZN2at6native12_GLOBAL__N_143distribution_elementwise_grid_stride_kernelIfLi4EZNS0_9templates4cuda20normal_and_transformIffPNS_17CUDAGeneratorImplEZZZNS4_13normal_kernelIS7_EEvRKNS_10TensorBaseEddT_ENKUlvE_clEvENKUlvE0_clEvEUlfE_EEvRNS_18TensorIteratorBaseET1_T2_EUlP25hiprandStatePhilox4_32_10E0_ZNS1_27distribution_nullary_kernelIff15HIP_vector_typeIfLj4EES7_SM_SF_EEvSH_SJ_RKT3_T4_EUlifE_EEvlNS_15PhiloxCudaStateESI_SJ_
                                        ; -- End function
	.section	.AMDGPU.csdata,"",@progbits
; Kernel info:
; codeLenInByte = 2860
; NumSgprs: 33
; NumVgprs: 50
; NumAgprs: 0
; TotalNumVgprs: 50
; ScratchSize: 0
; MemoryBound: 0
; FloatMode: 240
; IeeeMode: 1
; LDSByteSize: 0 bytes/workgroup (compile time only)
; SGPRBlocks: 4
; VGPRBlocks: 6
; NumSGPRsForWavesPerEU: 33
; NumVGPRsForWavesPerEU: 50
; AccumOffset: 52
; Occupancy: 8
; WaveLimiterHint : 0
; COMPUTE_PGM_RSRC2:SCRATCH_EN: 0
; COMPUTE_PGM_RSRC2:USER_SGPR: 6
; COMPUTE_PGM_RSRC2:TRAP_HANDLER: 0
; COMPUTE_PGM_RSRC2:TGID_X_EN: 1
; COMPUTE_PGM_RSRC2:TGID_Y_EN: 0
; COMPUTE_PGM_RSRC2:TGID_Z_EN: 0
; COMPUTE_PGM_RSRC2:TIDIG_COMP_CNT: 0
; COMPUTE_PGM_RSRC3_GFX90A:ACCUM_OFFSET: 12
; COMPUTE_PGM_RSRC3_GFX90A:TG_SPLIT: 0
	.section	.text._ZN2at6native12_GLOBAL__N_143distribution_elementwise_grid_stride_kernelIfLi4EZNS0_9templates4cuda20normal_and_transformIffPNS_17CUDAGeneratorImplEZZZNS4_13normal_kernelIS7_EEvRKNS_10TensorBaseEddT_ENKUlvE_clEvENKUlvE0_clEvEUlfE_EEvRNS_18TensorIteratorBaseET1_T2_EUlP25hiprandStatePhilox4_32_10E0_ZNS1_27distribution_nullary_kernelIff15HIP_vector_typeIfLj4EES7_SM_SF_EEvSH_SJ_RKT3_T4_EUlifE0_EEvlNS_15PhiloxCudaStateESI_SJ_,"axG",@progbits,_ZN2at6native12_GLOBAL__N_143distribution_elementwise_grid_stride_kernelIfLi4EZNS0_9templates4cuda20normal_and_transformIffPNS_17CUDAGeneratorImplEZZZNS4_13normal_kernelIS7_EEvRKNS_10TensorBaseEddT_ENKUlvE_clEvENKUlvE0_clEvEUlfE_EEvRNS_18TensorIteratorBaseET1_T2_EUlP25hiprandStatePhilox4_32_10E0_ZNS1_27distribution_nullary_kernelIff15HIP_vector_typeIfLj4EES7_SM_SF_EEvSH_SJ_RKT3_T4_EUlifE0_EEvlNS_15PhiloxCudaStateESI_SJ_,comdat
	.globl	_ZN2at6native12_GLOBAL__N_143distribution_elementwise_grid_stride_kernelIfLi4EZNS0_9templates4cuda20normal_and_transformIffPNS_17CUDAGeneratorImplEZZZNS4_13normal_kernelIS7_EEvRKNS_10TensorBaseEddT_ENKUlvE_clEvENKUlvE0_clEvEUlfE_EEvRNS_18TensorIteratorBaseET1_T2_EUlP25hiprandStatePhilox4_32_10E0_ZNS1_27distribution_nullary_kernelIff15HIP_vector_typeIfLj4EES7_SM_SF_EEvSH_SJ_RKT3_T4_EUlifE0_EEvlNS_15PhiloxCudaStateESI_SJ_ ; -- Begin function _ZN2at6native12_GLOBAL__N_143distribution_elementwise_grid_stride_kernelIfLi4EZNS0_9templates4cuda20normal_and_transformIffPNS_17CUDAGeneratorImplEZZZNS4_13normal_kernelIS7_EEvRKNS_10TensorBaseEddT_ENKUlvE_clEvENKUlvE0_clEvEUlfE_EEvRNS_18TensorIteratorBaseET1_T2_EUlP25hiprandStatePhilox4_32_10E0_ZNS1_27distribution_nullary_kernelIff15HIP_vector_typeIfLj4EES7_SM_SF_EEvSH_SJ_RKT3_T4_EUlifE0_EEvlNS_15PhiloxCudaStateESI_SJ_
	.p2align	8
	.type	_ZN2at6native12_GLOBAL__N_143distribution_elementwise_grid_stride_kernelIfLi4EZNS0_9templates4cuda20normal_and_transformIffPNS_17CUDAGeneratorImplEZZZNS4_13normal_kernelIS7_EEvRKNS_10TensorBaseEddT_ENKUlvE_clEvENKUlvE0_clEvEUlfE_EEvRNS_18TensorIteratorBaseET1_T2_EUlP25hiprandStatePhilox4_32_10E0_ZNS1_27distribution_nullary_kernelIff15HIP_vector_typeIfLj4EES7_SM_SF_EEvSH_SJ_RKT3_T4_EUlifE0_EEvlNS_15PhiloxCudaStateESI_SJ_,@function
_ZN2at6native12_GLOBAL__N_143distribution_elementwise_grid_stride_kernelIfLi4EZNS0_9templates4cuda20normal_and_transformIffPNS_17CUDAGeneratorImplEZZZNS4_13normal_kernelIS7_EEvRKNS_10TensorBaseEddT_ENKUlvE_clEvENKUlvE0_clEvEUlfE_EEvRNS_18TensorIteratorBaseET1_T2_EUlP25hiprandStatePhilox4_32_10E0_ZNS1_27distribution_nullary_kernelIff15HIP_vector_typeIfLj4EES7_SM_SF_EEvSH_SJ_RKT3_T4_EUlifE0_EEvlNS_15PhiloxCudaStateESI_SJ_: ; @_ZN2at6native12_GLOBAL__N_143distribution_elementwise_grid_stride_kernelIfLi4EZNS0_9templates4cuda20normal_and_transformIffPNS_17CUDAGeneratorImplEZZZNS4_13normal_kernelIS7_EEvRKNS_10TensorBaseEddT_ENKUlvE_clEvENKUlvE0_clEvEUlfE_EEvRNS_18TensorIteratorBaseET1_T2_EUlP25hiprandStatePhilox4_32_10E0_ZNS1_27distribution_nullary_kernelIff15HIP_vector_typeIfLj4EES7_SM_SF_EEvSH_SJ_RKT3_T4_EUlifE0_EEvlNS_15PhiloxCudaStateESI_SJ_
; %bb.0:
	s_load_dword s2, s[4:5], 0x20
	s_load_dwordx2 s[0:1], s[4:5], 0x10
	s_load_dwordx4 s[24:27], s[4:5], 0x0
	s_waitcnt lgkmcnt(0)
	s_bitcmp0_b32 s2, 0
	s_mov_b32 s2, 0
	v_pk_mov_b32 v[2:3], s[0:1], s[0:1] op_sel:[0,1]
	v_pk_mov_b32 v[10:11], s[26:27], s[26:27] op_sel:[0,1]
	s_cbranch_scc1 .LBB7_2
; %bb.1:
	v_pk_mov_b32 v[2:3], s[0:1], s[0:1] op_sel:[0,1]
	flat_load_dwordx2 v[2:3], v[2:3]
	v_pk_mov_b32 v[4:5], s[26:27], s[26:27] op_sel:[0,1]
	flat_load_dwordx2 v[10:11], v[4:5]
	s_load_dwordx2 s[0:1], s[4:5], 0x18
	s_waitcnt lgkmcnt(0)
	v_mov_b32_e32 v1, s1
	s_waitcnt vmcnt(0)
	v_add_co_u32_e32 v2, vcc, s0, v2
	v_addc_co_u32_e32 v3, vcc, v3, v1, vcc
.LBB7_2:
	s_load_dword s0, s[4:5], 0x154
	s_load_dword s7, s[4:5], 0x148
	s_waitcnt lgkmcnt(0)
	s_and_b32 s8, s0, 0xffff
	s_add_u32 s9, s24, -1
	s_mul_i32 s33, s7, s8
	s_addc_u32 s3, s25, -1
	s_lshl_b32 s60, s33, 2
	s_cmp_lg_u64 s[2:3], 0
	s_mov_b64 s[0:1], -1
	s_cbranch_scc0 .LBB7_83
; %bb.3:
	v_cvt_f32_u32_e32 v1, s60
	v_cvt_f32_ubyte0_e32 v4, 0
	s_sub_u32 s2, 0, s60
	s_subb_u32 s10, 0, 0
	v_madmk_f32 v1, v4, 0x4f800000, v1
	v_rcp_f32_e32 v1, v1
	v_mul_f32_e32 v1, 0x5f7ffffc, v1
	v_mul_f32_e32 v4, 0x2f800000, v1
	v_trunc_f32_e32 v4, v4
	v_madmk_f32 v1, v4, 0xcf800000, v1
	v_cvt_u32_f32_e32 v4, v4
	v_cvt_u32_f32_e32 v1, v1
	v_readfirstlane_b32 s11, v4
	v_readfirstlane_b32 s12, v1
	s_mul_i32 s13, s2, s11
	s_mul_hi_u32 s15, s2, s12
	s_mul_i32 s14, s10, s12
	s_add_i32 s13, s15, s13
	s_add_i32 s13, s13, s14
	s_mul_i32 s16, s2, s12
	s_mul_hi_u32 s14, s12, s13
	s_mul_i32 s15, s12, s13
	s_mul_hi_u32 s12, s12, s16
	s_add_u32 s12, s12, s15
	s_addc_u32 s14, 0, s14
	s_mul_hi_u32 s17, s11, s16
	s_mul_i32 s16, s11, s16
	s_add_u32 s12, s12, s16
	s_mul_hi_u32 s15, s11, s13
	s_addc_u32 s12, s14, s17
	s_addc_u32 s14, s15, 0
	s_mul_i32 s13, s11, s13
	s_add_u32 s12, s12, s13
	s_addc_u32 s13, 0, s14
	v_add_co_u32_e32 v1, vcc, s12, v1
	s_cmp_lg_u64 vcc, 0
	s_addc_u32 s11, s11, s13
	v_readfirstlane_b32 s13, v1
	s_mul_i32 s12, s2, s11
	s_mul_hi_u32 s14, s2, s13
	s_add_i32 s12, s14, s12
	s_mul_i32 s10, s10, s13
	s_add_i32 s12, s12, s10
	s_mul_i32 s2, s2, s13
	s_mul_hi_u32 s14, s11, s2
	s_mul_i32 s15, s11, s2
	s_mul_i32 s17, s13, s12
	s_mul_hi_u32 s2, s13, s2
	s_mul_hi_u32 s16, s13, s12
	s_add_u32 s2, s2, s17
	s_addc_u32 s13, 0, s16
	s_add_u32 s2, s2, s15
	s_mul_hi_u32 s10, s11, s12
	s_addc_u32 s2, s13, s14
	s_addc_u32 s10, s10, 0
	s_mul_i32 s12, s11, s12
	s_add_u32 s2, s2, s12
	s_addc_u32 s10, 0, s10
	v_add_co_u32_e32 v1, vcc, s2, v1
	s_cmp_lg_u64 vcc, 0
	s_addc_u32 s12, s11, s10
	s_ashr_i32 s10, s3, 31
	s_add_u32 s2, s9, s10
	s_mov_b32 s11, s10
	s_addc_u32 s3, s3, s10
	s_xor_b64 s[2:3], s[2:3], s[10:11]
	v_readfirstlane_b32 s15, v1
	s_mul_i32 s14, s2, s12
	s_mul_hi_u32 s16, s2, s15
	s_mul_hi_u32 s13, s2, s12
	s_add_u32 s14, s16, s14
	s_addc_u32 s13, 0, s13
	s_mul_hi_u32 s17, s3, s15
	s_mul_i32 s15, s3, s15
	s_add_u32 s14, s14, s15
	s_mul_hi_u32 s16, s3, s12
	s_addc_u32 s13, s13, s17
	s_addc_u32 s14, s16, 0
	s_mul_i32 s12, s3, s12
	s_add_u32 s12, s13, s12
	s_addc_u32 s13, 0, s14
	s_add_u32 s14, s12, 1
	s_addc_u32 s15, s13, 0
	s_add_u32 s16, s12, 2
	s_mul_i32 s18, s60, s13
	s_mul_hi_u32 s19, s60, s12
	s_addc_u32 s17, s13, 0
	s_add_i32 s19, s19, s18
	s_mul_i32 s18, s60, s12
	v_mov_b32_e32 v1, s18
	v_sub_co_u32_e32 v1, vcc, s2, v1
	s_cmp_lg_u64 vcc, 0
	s_subb_u32 s2, s3, s19
	v_subrev_co_u32_e32 v4, vcc, s60, v1
	s_cmp_lg_u64 vcc, 0
	s_subb_u32 s3, s2, 0
	v_readfirstlane_b32 s18, v4
	s_cmp_ge_u32 s18, s60
	s_cselect_b32 s18, -1, 0
	s_cmp_eq_u32 s3, 0
	s_cselect_b32 s3, s18, -1
	s_cmp_lg_u32 s3, 0
	s_cselect_b32 s3, s17, s15
	v_readfirstlane_b32 s15, v1
	s_cselect_b32 s14, s16, s14
	s_cmp_ge_u32 s15, s60
	s_cselect_b32 s15, -1, 0
	s_cmp_eq_u32 s2, 0
	s_cselect_b32 s2, s15, -1
	s_cmp_lg_u32 s2, 0
	s_cselect_b32 s3, s3, s13
	s_cselect_b32 s2, s14, s12
	s_xor_b64 s[2:3], s[2:3], s[10:11]
	s_sub_u32 s2, s2, s10
	s_subb_u32 s3, s3, s10
	s_cbranch_execnz .LBB7_5
.LBB7_4:
	v_cvt_f32_u32_e32 v1, s60
	s_sub_i32 s0, 0, s60
	s_mov_b32 s3, 0
	v_rcp_iflag_f32_e32 v1, v1
	v_mul_f32_e32 v1, 0x4f7ffffe, v1
	v_cvt_u32_f32_e32 v1, v1
	v_readfirstlane_b32 s1, v1
	s_mul_i32 s0, s0, s1
	s_mul_hi_u32 s0, s1, s0
	s_add_i32 s1, s1, s0
	s_mul_hi_u32 s0, s9, s1
	s_mul_i32 s2, s0, s60
	s_sub_i32 s2, s9, s2
	s_add_i32 s1, s0, 1
	s_sub_i32 s9, s2, s60
	s_cmp_ge_u32 s2, s60
	s_cselect_b32 s0, s1, s0
	s_cselect_b32 s2, s9, s2
	s_add_i32 s1, s0, 1
	s_cmp_ge_u32 s2, s60
	s_cselect_b32 s2, s1, s0
.LBB7_5:
	v_mov_b32_e32 v1, 0
	v_mov_b32_e32 v4, s6
	v_mad_u64_u32 v[12:13], s[0:1], s8, v4, v[0:1]
	s_add_u32 s0, s2, 1
	s_addc_u32 s1, s3, 0
	s_mul_hi_u32 s2, s7, s8
	s_mul_i32 s1, s33, s1
	s_mul_hi_u32 s3, s33, s0
	s_add_i32 s1, s3, s1
	s_mul_i32 s2, s2, s0
	s_add_i32 s1, s1, s2
	s_mul_i32 s0, s33, s0
	s_lshl_b64 s[26:27], s[0:1], 2
	v_cmp_gt_i64_e32 vcc, s[26:27], v[12:13]
	s_and_saveexec_b64 s[0:1], vcc
	s_cbranch_execz .LBB7_82
; %bb.6:
	s_mov_b32 s0, 0x5384540f
	v_mov_b32_e32 v0, v11
	v_add_co_u32_e32 v20, vcc, s0, v10
	s_mov_b32 s0, 0x646e171e
	v_add_co_u32_e32 v21, vcc, s0, v0
	s_mov_b32 s0, 0x1715609d
	;; [unrolled: 2-line block ×6, first 2 shown]
	v_alignbit_b32 v27, v3, v2, 2
	s_mov_b32 s62, 0xd2511f53
	v_add_co_u32_e32 v26, vcc, s0, v10
	v_mad_u64_u32 v[4:5], s[0:1], v27, s62, 0
	v_xor_b32_e32 v1, v5, v11
	v_xor_b32_e32 v1, v1, v13
	s_mov_b32 s63, 0xcd9e8d57
	v_mad_u64_u32 v[6:7], s[0:1], v1, s63, 0
	v_xor_b32_e32 v1, v26, v7
	v_mad_u64_u32 v[8:9], s[0:1], v12, s63, 0
	v_and_b32_e32 v16, 3, v2
	v_xor_b32_e32 v1, v1, v8
	v_xor_b32_e32 v2, v10, v9
	v_lshrrev_b32_e32 v28, 2, v3
	v_mad_u64_u32 v[14:15], s[0:1], v1, s62, 0
	v_xor_b32_e32 v2, v2, v28
	v_xor_b32_e32 v1, v25, v15
	v_mad_u64_u32 v[2:3], s[0:1], v2, s62, 0
	v_xor_b32_e32 v1, v1, v2
	v_mad_u64_u32 v[8:9], s[0:1], v1, s63, 0
	s_mov_b32 s0, 0xbb67ae85
	v_add_co_u32_e32 v29, vcc, s0, v0
	v_xor_b32_e32 v2, v29, v3
	v_xor_b32_e32 v2, v2, v4
	v_xor_b32_e32 v1, v24, v9
	v_mad_u64_u32 v[2:3], s[0:1], v2, s63, 0
	v_xor_b32_e32 v1, v1, v2
	v_mad_u64_u32 v[4:5], s[0:1], v1, s62, 0
	s_mov_b32 s0, 0x3c6ef372
	v_add_co_u32_e32 v30, vcc, s0, v10
	v_xor_b32_e32 v2, v30, v3
	;; [unrolled: 8-line block ×6, first 2 shown]
	v_add_co_u32_e32 v19, vcc, 0xdb3d7428, v0
	v_xor_b32_e32 v2, v2, v6
	v_xor_b32_e32 v1, v19, v39
	v_mad_u64_u32 v[2:3], s[0:1], v2, s62, 0
	v_xor_b32_e32 v1, v1, v2
	v_mad_u64_u32 v[40:41], s[0:1], v1, s63, 0
	s_mov_b32 s0, 0x1fd5c5a3
	v_add_co_u32_e32 v35, vcc, s0, v0
	v_xor_b32_e32 v0, v35, v3
	v_xor_b32_e32 v0, v0, v14
	v_mad_u64_u32 v[0:1], s[0:1], v0, s63, 0
	s_mov_b32 s0, 0xf1bbcdc8
	s_load_dwordx8 s[8:15], s[4:5], 0x30
	v_add_u32_e32 v17, 0x8ff34781, v10
	v_xor_b32_e32 v0, v41, v0
	v_add_co_u32_e32 v36, vcc, s0, v10
	v_xor_b32_e32 v4, v17, v0
	v_xor_b32_e32 v0, v36, v1
	;; [unrolled: 1-line block ×3, first 2 shown]
	s_add_u32 s34, s4, 48
	v_mad_u64_u32 v[0:1], s[0:1], v0, s62, 0
	s_addc_u32 s35, s5, 0
	s_waitcnt lgkmcnt(0)
	s_add_i32 s0, s8, -1
	s_cmp_gt_u32 s0, 1
	s_cselect_b64 s[40:41], -1, 0
	s_cmp_lg_u32 s8, 0
	s_cselect_b64 s[42:43], -1, 0
	s_add_u32 s44, s4, 0xf4
	s_addc_u32 s45, s5, 0
	s_min_u32 s1, s0, 15
	s_cmp_gt_u32 s8, 1
	s_cselect_b64 s[46:47], -1, 0
	s_add_i32 s1, s1, 1
	s_mov_b32 s8, s13
	s_load_dwordx2 s[48:49], s[4:5], 0xf4
	s_load_dwordx4 s[28:31], s[4:5], 0x138
	s_lshl_b32 s13, s33, 1
	s_and_b32 s66, s1, 3
	s_cmp_lg_u32 s0, 2
	s_cselect_b64 s[50:51], -1, 0
	s_and_b32 s67, s1, 28
	s_mov_b32 s61, 0
	v_add_u32_e32 v18, 0x96a522ad, v11
	v_xor_b32_e32 v1, v1, v38
	s_cmp_lg_u32 s66, 0
	v_xor_b32_e32 v6, v18, v1
	v_mov_b32_e32 v5, v40
	v_mov_b32_e32 v7, v0
	s_mov_b32 s15, s61
	s_mul_i32 s64, s33, 3
	s_mov_b32 s65, s61
	s_mov_b64 s[52:53], 0
	s_cselect_b64 s[54:55], -1, 0
	s_mov_b32 s68, 0x800000
	s_mov_b32 s69, 0x3f317217
	;; [unrolled: 1-line block ×4, first 2 shown]
	v_mov_b32_e32 v37, 0x260
	v_mov_b32_e32 v38, 0x4f800000
	;; [unrolled: 1-line block ×5, first 2 shown]
	s_branch .LBB7_9
.LBB7_7:                                ;   in Loop: Header=BB7_9 Depth=1
	v_mul_f32_e32 v3, 0.15915494, v3
	v_cos_f32_e32 v3, v3
	s_waitcnt lgkmcnt(0)
	v_mov_b32_e32 v4, s30
	v_mul_f32_e32 v3, v3, v8
	v_fma_f32 v3, s31, v3, v4
	global_store_dword v6, v3, s[28:29]
.LBB7_8:                                ;   in Loop: Header=BB7_9 Depth=1
	s_or_b64 exec, exec, s[36:37]
	v_add_co_u32_e32 v12, vcc, s60, v12
	v_mov_b32_e32 v3, v14
	v_addc_co_u32_e32 v13, vcc, 0, v13, vcc
	v_cmp_le_i64_e32 vcc, s[26:27], v[12:13]
	v_pk_mov_b32 v[6:7], v[2:3], v[2:3] op_sel:[0,1]
	s_or_b64 s[52:53], vcc, s[52:53]
	v_pk_mov_b32 v[4:5], v[0:1], v[0:1] op_sel:[0,1]
	s_waitcnt lgkmcnt(0)
	s_barrier
	s_andn2_b64 exec, exec, s[52:53]
	s_cbranch_execz .LBB7_82
.LBB7_9:                                ; =>This Loop Header: Depth=1
                                        ;     Child Loop BB7_24 Depth 2
                                        ;     Child Loop BB7_30 Depth 2
	;; [unrolled: 1-line block ×8, first 2 shown]
	v_add_co_u32_e32 v27, vcc, 1, v27
	v_cndmask_b32_e64 v0, 0, 1, vcc
	v_addc_co_u32_e32 v28, vcc, 0, v28, vcc
	v_cmp_eq_u32_e32 vcc, 0, v28
	v_cndmask_b32_e32 v0, 0, v0, vcc
	v_add_u32_e32 v40, v0, v40
	v_cmp_eq_u32_e32 vcc, 0, v40
	v_cndmask_b32_e32 v0, 0, v0, vcc
	v_add_u32_e32 v41, v0, v41
	v_mad_u64_u32 v[0:1], s[0:1], v27, s62, 0
	v_mad_u64_u32 v[2:3], s[0:1], v40, s63, 0
	v_xor_b32_e32 v1, v1, v11
	v_xor_b32_e32 v3, v3, v10
	v_xor_b32_e32 v1, v41, v1
	v_xor_b32_e32 v3, v28, v3
	v_mad_u64_u32 v[14:15], s[0:1], v1, s63, 0
	v_mad_u64_u32 v[8:9], s[0:1], v3, s62, 0
	v_xor_b32_e32 v1, v26, v15
	v_xor_b32_e32 v1, v1, v2
	v_xor_b32_e32 v2, v29, v9
	v_xor_b32_e32 v2, v2, v0
	;; [unrolled: 6-line block ×10, first 2 shown]
	v_mov_b32_e32 v1, v8
	v_mov_b32_e32 v2, v9
	v_cmp_lt_i32_e32 vcc, 1, v16
	s_and_saveexec_b64 s[0:1], vcc
	s_xor_b64 s[0:1], exec, s[0:1]
	s_cbranch_execz .LBB7_15
; %bb.10:                               ;   in Loop: Header=BB7_9 Depth=1
	v_cmp_lt_i32_e32 vcc, 2, v16
	s_and_saveexec_b64 s[2:3], vcc
	s_xor_b64 s[2:3], exec, s[2:3]
; %bb.11:                               ;   in Loop: Header=BB7_9 Depth=1
	v_mov_b32_e32 v6, v7
	v_mov_b32_e32 v7, v0
	v_pk_mov_b32 v[4:5], v[6:7], v[6:7] op_sel:[0,1]
	v_pk_mov_b32 v[6:7], v[8:9], v[8:9] op_sel:[0,1]
                                        ; implicit-def: $vgpr8_vgpr9
; %bb.12:                               ;   in Loop: Header=BB7_9 Depth=1
	s_andn2_saveexec_b64 s[2:3], s[2:3]
; %bb.13:                               ;   in Loop: Header=BB7_9 Depth=1
	v_mov_b32_e32 v4, v6
	v_mov_b32_e32 v5, v7
	;; [unrolled: 1-line block ×4, first 2 shown]
; %bb.14:                               ;   in Loop: Header=BB7_9 Depth=1
	s_or_b64 exec, exec, s[2:3]
.LBB7_15:                               ;   in Loop: Header=BB7_9 Depth=1
	s_andn2_saveexec_b64 s[0:1], s[0:1]
	s_cbranch_execz .LBB7_19
; %bb.16:                               ;   in Loop: Header=BB7_9 Depth=1
	v_cmp_eq_u32_e32 vcc, 1, v16
	s_and_saveexec_b64 s[2:3], vcc
; %bb.17:                               ;   in Loop: Header=BB7_9 Depth=1
	v_mov_b32_e32 v4, v5
	v_mov_b32_e32 v5, v6
	;; [unrolled: 1-line block ×4, first 2 shown]
; %bb.18:                               ;   in Loop: Header=BB7_9 Depth=1
	s_or_b64 exec, exec, s[2:3]
.LBB7_19:                               ;   in Loop: Header=BB7_9 Depth=1
	s_or_b64 exec, exec, s[0:1]
	v_cvt_f32_u32_e32 v3, v4
	v_mov_b32_e32 v4, 0x2f800000
	v_fmac_f32_e32 v4, 0x2f800000, v3
	v_cmp_gt_f32_e32 vcc, s68, v4
	v_cndmask_b32_e32 v3, 1.0, v38, vcc
	v_mul_f32_e32 v3, v4, v3
	v_log_f32_e32 v3, v3
	v_cvt_f32_u32_e32 v4, v5
	v_cndmask_b32_e32 v5, 0, v39, vcc
	v_mul_f32_e32 v8, 0x3f317217, v3
	v_fma_f32 v9, v3, s69, -v8
	v_fmac_f32_e32 v9, 0x3377d1cf, v3
	v_add_f32_e32 v8, v8, v9
	v_cmp_lt_f32_e64 vcc, |v3|, s70
	v_cndmask_b32_e32 v3, v3, v8, vcc
	v_sub_f32_e32 v3, v3, v5
	v_mul_f32_e32 v3, -2.0, v3
	v_mul_f32_e32 v5, 0x4f800000, v3
	v_cmp_gt_f32_e32 vcc, s71, v3
	v_cndmask_b32_e32 v5, v3, v5, vcc
	v_sqrt_f32_e32 v8, v5
	v_mov_b32_e32 v3, 0x30c90fdb
	v_fmac_f32_e32 v3, 0x30c90fdb, v4
	v_add_u32_e32 v4, -1, v8
	v_fma_f32 v9, -v4, v8, v5
	v_cmp_ge_f32_e64 s[0:1], 0, v9
	v_add_u32_e32 v9, 1, v8
	v_cndmask_b32_e64 v4, v8, v4, s[0:1]
	v_fma_f32 v8, -v9, v8, v5
	v_cmp_lt_f32_e64 s[0:1], 0, v8
	v_cndmask_b32_e64 v4, v4, v9, s[0:1]
	v_mul_f32_e32 v8, 0x37800000, v4
	v_cndmask_b32_e32 v4, v4, v8, vcc
	v_cmp_class_f32_e32 vcc, v5, v37
	v_cndmask_b32_e32 v15, v4, v5, vcc
	v_cndmask_b32_e64 v4, 0, 1, s[40:41]
	v_cmp_gt_i64_e32 vcc, s[24:25], v[12:13]
	v_cmp_ne_u32_e64 s[0:1], 1, v4
	s_and_saveexec_b64 s[2:3], vcc
	s_cbranch_execz .LBB7_35
; %bb.20:                               ;   in Loop: Header=BB7_9 Depth=1
	s_and_b64 vcc, exec, s[0:1]
	s_cbranch_vccnz .LBB7_26
; %bb.21:                               ;   in Loop: Header=BB7_9 Depth=1
	s_andn2_b64 vcc, exec, s[42:43]
	s_cbranch_vccnz .LBB7_27
; %bb.22:                               ;   in Loop: Header=BB7_9 Depth=1
	s_mov_b32 s6, 0
	s_andn2_b64 vcc, exec, s[50:51]
	v_mov_b32_e32 v4, 0
	s_cbranch_vccnz .LBB7_28
; %bb.23:                               ;   in Loop: Header=BB7_9 Depth=1
	s_mov_b32 s72, 0
	v_mov_b32_e32 v4, 0
	s_mov_b64 s[56:57], s[34:35]
	s_mov_b64 s[58:59], s[44:45]
	v_mov_b32_e32 v8, v12
.LBB7_24:                               ;   Parent Loop BB7_9 Depth=1
                                        ; =>  This Inner Loop Header: Depth=2
	s_load_dwordx8 s[16:23], s[56:57], 0x4
	s_load_dwordx4 s[4:7], s[56:57], 0x24
	s_load_dwordx4 s[36:39], s[58:59], 0x0
	s_add_u32 s56, s56, 48
	s_addc_u32 s57, s57, 0
	s_waitcnt lgkmcnt(0)
	v_mul_hi_u32 v5, s17, v8
	v_add_u32_e32 v5, v8, v5
	v_lshrrev_b32_e32 v5, s18, v5
	v_mul_lo_u32 v9, v5, s16
	v_mul_hi_u32 v42, s20, v5
	v_sub_u32_e32 v8, v8, v9
	v_add_u32_e32 v9, v5, v42
	v_lshrrev_b32_e32 v9, s21, v9
	v_mul_lo_u32 v42, v9, s19
	v_mul_hi_u32 v43, s23, v9
	v_sub_u32_e32 v5, v5, v42
	v_add_u32_e32 v42, v9, v43
	v_mul_lo_u32 v8, v8, s36
	v_mul_lo_u32 v5, v5, s37
	v_lshrrev_b32_e32 v42, s4, v42
	v_add3_u32 v4, v8, v4, v5
	v_mul_hi_u32 v8, s6, v42
	v_add_u32_e32 v8, v42, v8
	v_mul_lo_u32 v5, v42, s22
	v_lshrrev_b32_e32 v8, s7, v8
	s_add_i32 s72, s72, 4
	v_sub_u32_e32 v5, v9, v5
	v_mul_lo_u32 v9, v8, s5
	s_add_u32 s58, s58, 16
	v_sub_u32_e32 v9, v42, v9
	s_addc_u32 s59, s59, 0
	v_mul_lo_u32 v5, v5, s38
	v_mul_lo_u32 v9, v9, s39
	s_cmp_lg_u32 s67, s72
	v_add3_u32 v4, v5, v4, v9
	s_cbranch_scc1 .LBB7_24
; %bb.25:                               ;   in Loop: Header=BB7_9 Depth=1
	s_mov_b32 s6, s67
	s_andn2_b64 vcc, exec, s[54:55]
	s_cbranch_vccz .LBB7_29
	s_branch .LBB7_31
.LBB7_26:                               ;   in Loop: Header=BB7_9 Depth=1
                                        ; implicit-def: $vgpr4
	s_branch .LBB7_32
.LBB7_27:                               ;   in Loop: Header=BB7_9 Depth=1
	v_mov_b32_e32 v4, 0
	s_branch .LBB7_31
.LBB7_28:                               ;   in Loop: Header=BB7_9 Depth=1
	v_mov_b32_e32 v8, v12
	s_andn2_b64 vcc, exec, s[54:55]
	s_cbranch_vccnz .LBB7_31
.LBB7_29:                               ;   in Loop: Header=BB7_9 Depth=1
	s_lshl_b32 s4, s6, 2
	s_add_u32 s4, s44, s4
	s_addc_u32 s5, s45, 0
	s_mul_i32 s6, s6, 12
	s_add_u32 s6, s34, s6
	s_addc_u32 s7, s35, 0
	s_mov_b32 s16, s66
.LBB7_30:                               ;   Parent Loop BB7_9 Depth=1
                                        ; =>  This Inner Loop Header: Depth=2
	s_load_dwordx2 s[18:19], s[6:7], 0x4
	s_load_dword s17, s[6:7], 0xc
	s_load_dword s20, s[4:5], 0x0
	s_add_u32 s6, s6, 12
	s_addc_u32 s7, s7, 0
	s_waitcnt lgkmcnt(0)
	v_mul_hi_u32 v5, s19, v8
	v_add_u32_e32 v5, v8, v5
	v_lshrrev_b32_e32 v5, s17, v5
	s_add_u32 s4, s4, 4
	v_mul_lo_u32 v9, v5, s18
	s_addc_u32 s5, s5, 0
	s_add_i32 s16, s16, -1
	v_sub_u32_e32 v9, v8, v9
	s_cmp_lg_u32 s16, 0
	v_mov_b32_e32 v8, v5
	v_mad_u64_u32 v[4:5], s[18:19], v9, s20, v[4:5]
	s_cbranch_scc1 .LBB7_30
.LBB7_31:                               ;   in Loop: Header=BB7_9 Depth=1
	s_cbranch_execnz .LBB7_34
.LBB7_32:                               ;   in Loop: Header=BB7_9 Depth=1
	v_mul_hi_u32 v4, v12, s10
	v_add_u32_e32 v4, v4, v12
	v_lshrrev_b32_e32 v5, s11, v4
	v_mul_lo_u32 v4, v5, s9
	v_sub_u32_e32 v4, v12, v4
	s_andn2_b64 vcc, exec, s[46:47]
	s_waitcnt lgkmcnt(0)
	v_mul_lo_u32 v4, v4, s48
	s_cbranch_vccnz .LBB7_34
; %bb.33:                               ;   in Loop: Header=BB7_9 Depth=1
	v_mul_hi_u32 v8, s8, v5
	v_add_u32_e32 v8, v5, v8
	v_lshrrev_b32_e32 v8, s14, v8
	v_mul_lo_u32 v8, v8, s12
	v_sub_u32_e32 v5, v5, v8
	v_mad_u64_u32 v[4:5], s[4:5], v5, s49, v[4:5]
.LBB7_34:                               ;   in Loop: Header=BB7_9 Depth=1
	v_mul_f32_e32 v5, 0.15915494, v3
	v_sin_f32_e32 v5, v5
	s_waitcnt lgkmcnt(0)
	v_mov_b32_e32 v8, s30
	v_mul_f32_e32 v5, v5, v15
	v_fma_f32 v5, s31, v5, v8
	global_store_dword v4, v5, s[28:29]
.LBB7_35:                               ;   in Loop: Header=BB7_9 Depth=1
	s_or_b64 exec, exec, s[2:3]
	v_mov_b32_e32 v5, s61
	v_add_co_u32_e32 v4, vcc, s33, v12
	v_addc_co_u32_e32 v5, vcc, v13, v5, vcc
	v_cmp_gt_i64_e32 vcc, s[24:25], v[4:5]
	s_and_saveexec_b64 s[2:3], vcc
	s_cbranch_execz .LBB7_51
; %bb.36:                               ;   in Loop: Header=BB7_9 Depth=1
	s_and_b64 vcc, exec, s[0:1]
	s_cbranch_vccnz .LBB7_42
; %bb.37:                               ;   in Loop: Header=BB7_9 Depth=1
	s_andn2_b64 vcc, exec, s[42:43]
	s_cbranch_vccnz .LBB7_43
; %bb.38:                               ;   in Loop: Header=BB7_9 Depth=1
	s_mov_b32 s6, 0
	s_andn2_b64 vcc, exec, s[50:51]
	v_mov_b32_e32 v8, 0
	s_cbranch_vccnz .LBB7_44
; %bb.39:                               ;   in Loop: Header=BB7_9 Depth=1
	s_mov_b32 s72, 0
	v_mov_b32_e32 v8, 0
	s_mov_b64 s[56:57], s[34:35]
	s_mov_b64 s[58:59], s[44:45]
	v_mov_b32_e32 v5, v4
.LBB7_40:                               ;   Parent Loop BB7_9 Depth=1
                                        ; =>  This Inner Loop Header: Depth=2
	s_load_dwordx8 s[16:23], s[56:57], 0x4
	s_load_dwordx4 s[4:7], s[56:57], 0x24
	s_load_dwordx4 s[36:39], s[58:59], 0x0
	s_add_u32 s56, s56, 48
	s_addc_u32 s57, s57, 0
	s_waitcnt lgkmcnt(0)
	v_mul_hi_u32 v9, s17, v5
	v_add_u32_e32 v9, v5, v9
	v_lshrrev_b32_e32 v9, s18, v9
	v_mul_lo_u32 v42, v9, s16
	v_mul_hi_u32 v43, s20, v9
	v_sub_u32_e32 v5, v5, v42
	v_add_u32_e32 v42, v9, v43
	v_lshrrev_b32_e32 v42, s21, v42
	v_mul_lo_u32 v43, v42, s19
	v_mul_hi_u32 v44, s23, v42
	v_sub_u32_e32 v9, v9, v43
	v_add_u32_e32 v43, v42, v44
	v_mul_lo_u32 v5, v5, s36
	v_mul_lo_u32 v9, v9, s37
	v_lshrrev_b32_e32 v43, s4, v43
	v_add3_u32 v8, v5, v8, v9
	v_mul_lo_u32 v5, v43, s22
	v_mul_hi_u32 v9, s6, v43
	v_sub_u32_e32 v5, v42, v5
	v_add_u32_e32 v9, v43, v9
	v_mul_lo_u32 v42, v5, s38
	v_lshrrev_b32_e32 v5, s7, v9
	s_add_i32 s72, s72, 4
	v_mul_lo_u32 v9, v5, s5
	s_add_u32 s58, s58, 16
	v_sub_u32_e32 v9, v43, v9
	s_addc_u32 s59, s59, 0
	v_mul_lo_u32 v9, v9, s39
	s_cmp_eq_u32 s67, s72
	v_add3_u32 v8, v42, v8, v9
	s_cbranch_scc0 .LBB7_40
; %bb.41:                               ;   in Loop: Header=BB7_9 Depth=1
	s_mov_b32 s6, s67
	s_andn2_b64 vcc, exec, s[54:55]
	s_cbranch_vccz .LBB7_45
	s_branch .LBB7_47
.LBB7_42:                               ;   in Loop: Header=BB7_9 Depth=1
                                        ; implicit-def: $vgpr8
	s_branch .LBB7_48
.LBB7_43:                               ;   in Loop: Header=BB7_9 Depth=1
	v_mov_b32_e32 v8, 0
	s_branch .LBB7_47
.LBB7_44:                               ;   in Loop: Header=BB7_9 Depth=1
	v_mov_b32_e32 v5, v4
	s_andn2_b64 vcc, exec, s[54:55]
	s_cbranch_vccnz .LBB7_47
.LBB7_45:                               ;   in Loop: Header=BB7_9 Depth=1
	s_lshl_b32 s4, s6, 2
	s_add_u32 s4, s44, s4
	s_addc_u32 s5, s45, 0
	s_mul_i32 s6, s6, 12
	s_add_u32 s6, s34, s6
	s_addc_u32 s7, s35, 0
	s_mov_b32 s16, s66
.LBB7_46:                               ;   Parent Loop BB7_9 Depth=1
                                        ; =>  This Inner Loop Header: Depth=2
	s_load_dwordx2 s[18:19], s[6:7], 0x4
	s_load_dword s17, s[6:7], 0xc
	s_load_dword s20, s[4:5], 0x0
	s_add_u32 s6, s6, 12
	s_addc_u32 s7, s7, 0
	s_waitcnt lgkmcnt(0)
	v_mul_hi_u32 v9, s19, v5
	v_add_u32_e32 v9, v5, v9
	v_lshrrev_b32_e32 v9, s17, v9
	s_add_u32 s4, s4, 4
	v_mul_lo_u32 v42, v9, s18
	s_addc_u32 s5, s5, 0
	s_add_i32 s16, s16, -1
	v_sub_u32_e32 v42, v5, v42
	s_cmp_lg_u32 s16, 0
	v_mov_b32_e32 v5, v9
	v_mad_u64_u32 v[8:9], s[18:19], v42, s20, v[8:9]
	s_cbranch_scc1 .LBB7_46
.LBB7_47:                               ;   in Loop: Header=BB7_9 Depth=1
	s_cbranch_execnz .LBB7_50
.LBB7_48:                               ;   in Loop: Header=BB7_9 Depth=1
	v_mul_hi_u32 v5, v4, s10
	v_add_u32_e32 v5, v5, v4
	v_lshrrev_b32_e32 v5, s11, v5
	v_mul_lo_u32 v8, v5, s9
	v_sub_u32_e32 v4, v4, v8
	s_andn2_b64 vcc, exec, s[46:47]
	s_waitcnt lgkmcnt(0)
	v_mul_lo_u32 v8, v4, s48
	s_cbranch_vccnz .LBB7_50
; %bb.49:                               ;   in Loop: Header=BB7_9 Depth=1
	v_mul_hi_u32 v4, s8, v5
	v_add_u32_e32 v4, v5, v4
	v_lshrrev_b32_e32 v4, s14, v4
	v_mul_lo_u32 v4, v4, s12
	v_sub_u32_e32 v4, v5, v4
	v_mad_u64_u32 v[8:9], s[4:5], v4, s49, v[8:9]
.LBB7_50:                               ;   in Loop: Header=BB7_9 Depth=1
	v_mul_f32_e32 v3, 0.15915494, v3
	v_cos_f32_e32 v3, v3
	s_waitcnt lgkmcnt(0)
	v_mov_b32_e32 v4, s30
	v_mul_f32_e32 v3, v3, v15
	v_fma_f32 v3, s31, v3, v4
	global_store_dword v8, v3, s[28:29]
.LBB7_51:                               ;   in Loop: Header=BB7_9 Depth=1
	s_or_b64 exec, exec, s[2:3]
	v_cvt_f32_u32_e32 v3, v6
	v_mov_b32_e32 v4, 0x2f800000
	v_fmac_f32_e32 v4, 0x2f800000, v3
	v_cmp_gt_f32_e32 vcc, s68, v4
	v_cndmask_b32_e32 v3, 1.0, v38, vcc
	v_mul_f32_e32 v3, v4, v3
	v_log_f32_e32 v3, v3
	v_cvt_f32_u32_e32 v4, v7
	v_cndmask_b32_e32 v5, 0, v39, vcc
	v_mul_f32_e32 v6, 0x3f317217, v3
	v_fma_f32 v7, v3, s69, -v6
	v_fmac_f32_e32 v7, 0x3377d1cf, v3
	v_add_f32_e32 v6, v6, v7
	v_cmp_lt_f32_e64 vcc, |v3|, s70
	v_cndmask_b32_e32 v3, v3, v6, vcc
	v_sub_f32_e32 v3, v3, v5
	v_mul_f32_e32 v3, -2.0, v3
	v_mul_f32_e32 v5, 0x4f800000, v3
	v_cmp_gt_f32_e32 vcc, s71, v3
	v_cndmask_b32_e32 v5, v3, v5, vcc
	v_sqrt_f32_e32 v6, v5
	v_mov_b32_e32 v3, 0x30c90fdb
	v_fmac_f32_e32 v3, 0x30c90fdb, v4
	v_add_u32_e32 v4, -1, v6
	v_fma_f32 v7, -v4, v6, v5
	v_cmp_ge_f32_e64 s[2:3], 0, v7
	v_add_u32_e32 v7, 1, v6
	v_cndmask_b32_e64 v4, v6, v4, s[2:3]
	v_fma_f32 v6, -v7, v6, v5
	v_cmp_lt_f32_e64 s[2:3], 0, v6
	v_cndmask_b32_e64 v4, v4, v7, s[2:3]
	v_mul_f32_e32 v6, 0x37800000, v4
	v_cndmask_b32_e32 v4, v4, v6, vcc
	v_cmp_class_f32_e32 vcc, v5, v37
	v_cndmask_b32_e32 v8, v4, v5, vcc
	v_mov_b32_e32 v5, s15
	v_add_co_u32_e32 v4, vcc, s13, v12
	v_addc_co_u32_e32 v5, vcc, v13, v5, vcc
	v_cmp_gt_i64_e32 vcc, s[24:25], v[4:5]
	s_and_saveexec_b64 s[2:3], vcc
	s_cbranch_execz .LBB7_67
; %bb.52:                               ;   in Loop: Header=BB7_9 Depth=1
	s_and_b64 vcc, exec, s[0:1]
	s_cbranch_vccnz .LBB7_58
; %bb.53:                               ;   in Loop: Header=BB7_9 Depth=1
	s_andn2_b64 vcc, exec, s[42:43]
	s_cbranch_vccnz .LBB7_59
; %bb.54:                               ;   in Loop: Header=BB7_9 Depth=1
	s_mov_b32 s6, 0
	s_andn2_b64 vcc, exec, s[50:51]
	v_mov_b32_e32 v6, 0
	s_cbranch_vccnz .LBB7_60
; %bb.55:                               ;   in Loop: Header=BB7_9 Depth=1
	s_mov_b32 s72, 0
	v_mov_b32_e32 v6, 0
	s_mov_b64 s[56:57], s[34:35]
	s_mov_b64 s[58:59], s[44:45]
	v_mov_b32_e32 v5, v4
.LBB7_56:                               ;   Parent Loop BB7_9 Depth=1
                                        ; =>  This Inner Loop Header: Depth=2
	s_load_dwordx8 s[16:23], s[56:57], 0x4
	s_load_dwordx4 s[4:7], s[56:57], 0x24
	s_load_dwordx4 s[36:39], s[58:59], 0x0
	s_add_u32 s56, s56, 48
	s_addc_u32 s57, s57, 0
	s_waitcnt lgkmcnt(0)
	v_mul_hi_u32 v7, s17, v5
	v_add_u32_e32 v7, v5, v7
	v_lshrrev_b32_e32 v7, s18, v7
	v_mul_lo_u32 v9, v7, s16
	v_mul_hi_u32 v15, s20, v7
	v_sub_u32_e32 v5, v5, v9
	v_add_u32_e32 v9, v7, v15
	v_lshrrev_b32_e32 v9, s21, v9
	v_mul_lo_u32 v15, v9, s19
	v_mul_hi_u32 v42, s23, v9
	v_sub_u32_e32 v7, v7, v15
	v_add_u32_e32 v15, v9, v42
	v_mul_lo_u32 v5, v5, s36
	v_mul_lo_u32 v7, v7, s37
	v_lshrrev_b32_e32 v15, s4, v15
	v_add3_u32 v6, v5, v6, v7
	v_mul_lo_u32 v5, v15, s22
	v_mul_hi_u32 v7, s6, v15
	v_sub_u32_e32 v5, v9, v5
	v_add_u32_e32 v7, v15, v7
	v_mul_lo_u32 v9, v5, s38
	v_lshrrev_b32_e32 v5, s7, v7
	s_add_i32 s72, s72, 4
	v_mul_lo_u32 v7, v5, s5
	s_add_u32 s58, s58, 16
	v_sub_u32_e32 v7, v15, v7
	s_addc_u32 s59, s59, 0
	v_mul_lo_u32 v7, v7, s39
	s_cmp_eq_u32 s67, s72
	v_add3_u32 v6, v9, v6, v7
	s_cbranch_scc0 .LBB7_56
; %bb.57:                               ;   in Loop: Header=BB7_9 Depth=1
	s_mov_b32 s6, s67
	s_andn2_b64 vcc, exec, s[54:55]
	s_cbranch_vccz .LBB7_61
	s_branch .LBB7_63
.LBB7_58:                               ;   in Loop: Header=BB7_9 Depth=1
                                        ; implicit-def: $vgpr6
	s_branch .LBB7_64
.LBB7_59:                               ;   in Loop: Header=BB7_9 Depth=1
	v_mov_b32_e32 v6, 0
	s_branch .LBB7_63
.LBB7_60:                               ;   in Loop: Header=BB7_9 Depth=1
	v_mov_b32_e32 v5, v4
	s_andn2_b64 vcc, exec, s[54:55]
	s_cbranch_vccnz .LBB7_63
.LBB7_61:                               ;   in Loop: Header=BB7_9 Depth=1
	s_lshl_b32 s4, s6, 2
	s_add_u32 s4, s44, s4
	s_addc_u32 s5, s45, 0
	s_mul_i32 s6, s6, 12
	s_add_u32 s6, s34, s6
	s_addc_u32 s7, s35, 0
	s_mov_b32 s16, s66
.LBB7_62:                               ;   Parent Loop BB7_9 Depth=1
                                        ; =>  This Inner Loop Header: Depth=2
	s_load_dwordx2 s[18:19], s[6:7], 0x4
	s_load_dword s17, s[6:7], 0xc
	s_load_dword s20, s[4:5], 0x0
	s_add_u32 s6, s6, 12
	s_addc_u32 s7, s7, 0
	s_waitcnt lgkmcnt(0)
	v_mul_hi_u32 v7, s19, v5
	v_add_u32_e32 v7, v5, v7
	v_lshrrev_b32_e32 v7, s17, v7
	s_add_u32 s4, s4, 4
	v_mul_lo_u32 v9, v7, s18
	s_addc_u32 s5, s5, 0
	s_add_i32 s16, s16, -1
	v_sub_u32_e32 v9, v5, v9
	s_cmp_lg_u32 s16, 0
	v_mov_b32_e32 v5, v7
	v_mad_u64_u32 v[6:7], s[18:19], v9, s20, v[6:7]
	s_cbranch_scc1 .LBB7_62
.LBB7_63:                               ;   in Loop: Header=BB7_9 Depth=1
	s_cbranch_execnz .LBB7_66
.LBB7_64:                               ;   in Loop: Header=BB7_9 Depth=1
	v_mul_hi_u32 v5, v4, s10
	v_add_u32_e32 v5, v5, v4
	v_lshrrev_b32_e32 v5, s11, v5
	v_mul_lo_u32 v6, v5, s9
	v_sub_u32_e32 v4, v4, v6
	s_andn2_b64 vcc, exec, s[46:47]
	s_waitcnt lgkmcnt(0)
	v_mul_lo_u32 v6, v4, s48
	s_cbranch_vccnz .LBB7_66
; %bb.65:                               ;   in Loop: Header=BB7_9 Depth=1
	v_mul_hi_u32 v4, s8, v5
	v_add_u32_e32 v4, v5, v4
	v_lshrrev_b32_e32 v4, s14, v4
	v_mul_lo_u32 v4, v4, s12
	v_sub_u32_e32 v4, v5, v4
	v_mad_u64_u32 v[6:7], s[4:5], v4, s49, v[6:7]
.LBB7_66:                               ;   in Loop: Header=BB7_9 Depth=1
	v_mul_f32_e32 v4, 0.15915494, v3
	v_sin_f32_e32 v4, v4
	s_waitcnt lgkmcnt(0)
	v_mov_b32_e32 v5, s30
	v_mul_f32_e32 v4, v4, v8
	v_fma_f32 v4, s31, v4, v5
	global_store_dword v6, v4, s[28:29]
.LBB7_67:                               ;   in Loop: Header=BB7_9 Depth=1
	s_or_b64 exec, exec, s[2:3]
	v_mov_b32_e32 v5, s65
	v_add_co_u32_e32 v4, vcc, s64, v12
	v_addc_co_u32_e32 v5, vcc, v13, v5, vcc
	v_cmp_gt_i64_e32 vcc, s[24:25], v[4:5]
	s_and_saveexec_b64 s[36:37], vcc
	s_cbranch_execz .LBB7_8
; %bb.68:                               ;   in Loop: Header=BB7_9 Depth=1
	s_and_b64 vcc, exec, s[0:1]
	s_cbranch_vccnz .LBB7_74
; %bb.69:                               ;   in Loop: Header=BB7_9 Depth=1
	s_andn2_b64 vcc, exec, s[42:43]
	s_cbranch_vccnz .LBB7_75
; %bb.70:                               ;   in Loop: Header=BB7_9 Depth=1
	s_mov_b32 s2, 0
	s_andn2_b64 vcc, exec, s[50:51]
	v_mov_b32_e32 v6, 0
	s_cbranch_vccnz .LBB7_76
; %bb.71:                               ;   in Loop: Header=BB7_9 Depth=1
	s_mov_b32 s58, 0
	v_mov_b32_e32 v6, 0
	s_mov_b64 s[38:39], s[34:35]
	s_mov_b64 s[56:57], s[44:45]
	v_mov_b32_e32 v5, v4
.LBB7_72:                               ;   Parent Loop BB7_9 Depth=1
                                        ; =>  This Inner Loop Header: Depth=2
	s_load_dwordx8 s[0:7], s[38:39], 0x4
	s_load_dwordx4 s[16:19], s[38:39], 0x24
	s_load_dwordx4 s[20:23], s[56:57], 0x0
	s_add_u32 s38, s38, 48
	s_addc_u32 s39, s39, 0
	s_waitcnt lgkmcnt(0)
	v_mul_hi_u32 v7, s1, v5
	v_add_u32_e32 v7, v5, v7
	v_lshrrev_b32_e32 v7, s2, v7
	v_mul_lo_u32 v9, v7, s0
	v_mul_hi_u32 v15, s4, v7
	v_sub_u32_e32 v5, v5, v9
	v_add_u32_e32 v9, v7, v15
	v_lshrrev_b32_e32 v9, s5, v9
	v_mul_lo_u32 v15, v9, s3
	v_mul_hi_u32 v42, s7, v9
	v_sub_u32_e32 v7, v7, v15
	v_add_u32_e32 v15, v9, v42
	v_mul_lo_u32 v5, v5, s20
	v_mul_lo_u32 v7, v7, s21
	v_lshrrev_b32_e32 v15, s16, v15
	v_add3_u32 v6, v5, v6, v7
	v_mul_lo_u32 v5, v15, s6
	v_mul_hi_u32 v7, s18, v15
	v_sub_u32_e32 v5, v9, v5
	v_add_u32_e32 v7, v15, v7
	v_mul_lo_u32 v9, v5, s22
	v_lshrrev_b32_e32 v5, s19, v7
	s_add_i32 s58, s58, 4
	v_mul_lo_u32 v7, v5, s17
	s_add_u32 s56, s56, 16
	v_sub_u32_e32 v7, v15, v7
	s_addc_u32 s57, s57, 0
	v_mul_lo_u32 v7, v7, s23
	s_cmp_eq_u32 s67, s58
	v_add3_u32 v6, v9, v6, v7
	s_cbranch_scc0 .LBB7_72
; %bb.73:                               ;   in Loop: Header=BB7_9 Depth=1
	s_mov_b32 s2, s67
	s_andn2_b64 vcc, exec, s[54:55]
	s_cbranch_vccz .LBB7_77
	s_branch .LBB7_79
.LBB7_74:                               ;   in Loop: Header=BB7_9 Depth=1
                                        ; implicit-def: $vgpr6
	s_branch .LBB7_80
.LBB7_75:                               ;   in Loop: Header=BB7_9 Depth=1
	v_mov_b32_e32 v6, 0
	s_branch .LBB7_79
.LBB7_76:                               ;   in Loop: Header=BB7_9 Depth=1
	v_mov_b32_e32 v5, v4
	s_andn2_b64 vcc, exec, s[54:55]
	s_cbranch_vccnz .LBB7_79
.LBB7_77:                               ;   in Loop: Header=BB7_9 Depth=1
	s_lshl_b32 s0, s2, 2
	s_add_u32 s0, s44, s0
	s_addc_u32 s1, s45, 0
	s_mul_i32 s2, s2, 12
	s_add_u32 s2, s34, s2
	s_addc_u32 s3, s35, 0
	s_mov_b32 s4, s66
.LBB7_78:                               ;   Parent Loop BB7_9 Depth=1
                                        ; =>  This Inner Loop Header: Depth=2
	s_load_dwordx2 s[6:7], s[2:3], 0x4
	s_load_dword s5, s[2:3], 0xc
	s_load_dword s16, s[0:1], 0x0
	s_add_u32 s2, s2, 12
	s_addc_u32 s3, s3, 0
	s_waitcnt lgkmcnt(0)
	v_mul_hi_u32 v7, s7, v5
	v_add_u32_e32 v7, v5, v7
	v_lshrrev_b32_e32 v7, s5, v7
	s_add_u32 s0, s0, 4
	v_mul_lo_u32 v9, v7, s6
	s_addc_u32 s1, s1, 0
	s_add_i32 s4, s4, -1
	v_sub_u32_e32 v9, v5, v9
	s_cmp_lg_u32 s4, 0
	v_mov_b32_e32 v5, v7
	v_mad_u64_u32 v[6:7], s[6:7], v9, s16, v[6:7]
	s_cbranch_scc1 .LBB7_78
.LBB7_79:                               ;   in Loop: Header=BB7_9 Depth=1
	s_cbranch_execnz .LBB7_7
.LBB7_80:                               ;   in Loop: Header=BB7_9 Depth=1
	v_mul_hi_u32 v5, v4, s10
	v_add_u32_e32 v5, v5, v4
	v_lshrrev_b32_e32 v5, s11, v5
	v_mul_lo_u32 v6, v5, s9
	v_sub_u32_e32 v4, v4, v6
	s_andn2_b64 vcc, exec, s[46:47]
	s_waitcnt lgkmcnt(0)
	v_mul_lo_u32 v6, v4, s48
	s_cbranch_vccnz .LBB7_7
; %bb.81:                               ;   in Loop: Header=BB7_9 Depth=1
	v_mul_hi_u32 v4, s8, v5
	v_add_u32_e32 v4, v5, v4
	v_lshrrev_b32_e32 v4, s14, v4
	v_mul_lo_u32 v4, v4, s12
	v_sub_u32_e32 v4, v5, v4
	v_mad_u64_u32 v[6:7], s[0:1], v4, s49, v[6:7]
	s_branch .LBB7_7
.LBB7_82:
	s_endpgm
.LBB7_83:
                                        ; implicit-def: $sgpr2_sgpr3
	s_andn2_b64 vcc, exec, s[0:1]
	s_cbranch_vccz .LBB7_4
	s_branch .LBB7_5
	.section	.rodata,"a",@progbits
	.p2align	6, 0x0
	.amdhsa_kernel _ZN2at6native12_GLOBAL__N_143distribution_elementwise_grid_stride_kernelIfLi4EZNS0_9templates4cuda20normal_and_transformIffPNS_17CUDAGeneratorImplEZZZNS4_13normal_kernelIS7_EEvRKNS_10TensorBaseEddT_ENKUlvE_clEvENKUlvE0_clEvEUlfE_EEvRNS_18TensorIteratorBaseET1_T2_EUlP25hiprandStatePhilox4_32_10E0_ZNS1_27distribution_nullary_kernelIff15HIP_vector_typeIfLj4EES7_SM_SF_EEvSH_SJ_RKT3_T4_EUlifE0_EEvlNS_15PhiloxCudaStateESI_SJ_
		.amdhsa_group_segment_fixed_size 0
		.amdhsa_private_segment_fixed_size 0
		.amdhsa_kernarg_size 584
		.amdhsa_user_sgpr_count 6
		.amdhsa_user_sgpr_private_segment_buffer 1
		.amdhsa_user_sgpr_dispatch_ptr 0
		.amdhsa_user_sgpr_queue_ptr 0
		.amdhsa_user_sgpr_kernarg_segment_ptr 1
		.amdhsa_user_sgpr_dispatch_id 0
		.amdhsa_user_sgpr_flat_scratch_init 0
		.amdhsa_user_sgpr_kernarg_preload_length 0
		.amdhsa_user_sgpr_kernarg_preload_offset 0
		.amdhsa_user_sgpr_private_segment_size 0
		.amdhsa_uses_dynamic_stack 0
		.amdhsa_system_sgpr_private_segment_wavefront_offset 0
		.amdhsa_system_sgpr_workgroup_id_x 1
		.amdhsa_system_sgpr_workgroup_id_y 0
		.amdhsa_system_sgpr_workgroup_id_z 0
		.amdhsa_system_sgpr_workgroup_info 0
		.amdhsa_system_vgpr_workitem_id 0
		.amdhsa_next_free_vgpr 45
		.amdhsa_next_free_sgpr 73
		.amdhsa_accum_offset 48
		.amdhsa_reserve_vcc 1
		.amdhsa_reserve_flat_scratch 0
		.amdhsa_float_round_mode_32 0
		.amdhsa_float_round_mode_16_64 0
		.amdhsa_float_denorm_mode_32 3
		.amdhsa_float_denorm_mode_16_64 3
		.amdhsa_dx10_clamp 1
		.amdhsa_ieee_mode 1
		.amdhsa_fp16_overflow 0
		.amdhsa_tg_split 0
		.amdhsa_exception_fp_ieee_invalid_op 0
		.amdhsa_exception_fp_denorm_src 0
		.amdhsa_exception_fp_ieee_div_zero 0
		.amdhsa_exception_fp_ieee_overflow 0
		.amdhsa_exception_fp_ieee_underflow 0
		.amdhsa_exception_fp_ieee_inexact 0
		.amdhsa_exception_int_div_zero 0
	.end_amdhsa_kernel
	.section	.text._ZN2at6native12_GLOBAL__N_143distribution_elementwise_grid_stride_kernelIfLi4EZNS0_9templates4cuda20normal_and_transformIffPNS_17CUDAGeneratorImplEZZZNS4_13normal_kernelIS7_EEvRKNS_10TensorBaseEddT_ENKUlvE_clEvENKUlvE0_clEvEUlfE_EEvRNS_18TensorIteratorBaseET1_T2_EUlP25hiprandStatePhilox4_32_10E0_ZNS1_27distribution_nullary_kernelIff15HIP_vector_typeIfLj4EES7_SM_SF_EEvSH_SJ_RKT3_T4_EUlifE0_EEvlNS_15PhiloxCudaStateESI_SJ_,"axG",@progbits,_ZN2at6native12_GLOBAL__N_143distribution_elementwise_grid_stride_kernelIfLi4EZNS0_9templates4cuda20normal_and_transformIffPNS_17CUDAGeneratorImplEZZZNS4_13normal_kernelIS7_EEvRKNS_10TensorBaseEddT_ENKUlvE_clEvENKUlvE0_clEvEUlfE_EEvRNS_18TensorIteratorBaseET1_T2_EUlP25hiprandStatePhilox4_32_10E0_ZNS1_27distribution_nullary_kernelIff15HIP_vector_typeIfLj4EES7_SM_SF_EEvSH_SJ_RKT3_T4_EUlifE0_EEvlNS_15PhiloxCudaStateESI_SJ_,comdat
.Lfunc_end7:
	.size	_ZN2at6native12_GLOBAL__N_143distribution_elementwise_grid_stride_kernelIfLi4EZNS0_9templates4cuda20normal_and_transformIffPNS_17CUDAGeneratorImplEZZZNS4_13normal_kernelIS7_EEvRKNS_10TensorBaseEddT_ENKUlvE_clEvENKUlvE0_clEvEUlfE_EEvRNS_18TensorIteratorBaseET1_T2_EUlP25hiprandStatePhilox4_32_10E0_ZNS1_27distribution_nullary_kernelIff15HIP_vector_typeIfLj4EES7_SM_SF_EEvSH_SJ_RKT3_T4_EUlifE0_EEvlNS_15PhiloxCudaStateESI_SJ_, .Lfunc_end7-_ZN2at6native12_GLOBAL__N_143distribution_elementwise_grid_stride_kernelIfLi4EZNS0_9templates4cuda20normal_and_transformIffPNS_17CUDAGeneratorImplEZZZNS4_13normal_kernelIS7_EEvRKNS_10TensorBaseEddT_ENKUlvE_clEvENKUlvE0_clEvEUlfE_EEvRNS_18TensorIteratorBaseET1_T2_EUlP25hiprandStatePhilox4_32_10E0_ZNS1_27distribution_nullary_kernelIff15HIP_vector_typeIfLj4EES7_SM_SF_EEvSH_SJ_RKT3_T4_EUlifE0_EEvlNS_15PhiloxCudaStateESI_SJ_
                                        ; -- End function
	.section	.AMDGPU.csdata,"",@progbits
; Kernel info:
; codeLenInByte = 4892
; NumSgprs: 77
; NumVgprs: 45
; NumAgprs: 0
; TotalNumVgprs: 45
; ScratchSize: 0
; MemoryBound: 0
; FloatMode: 240
; IeeeMode: 1
; LDSByteSize: 0 bytes/workgroup (compile time only)
; SGPRBlocks: 9
; VGPRBlocks: 5
; NumSGPRsForWavesPerEU: 77
; NumVGPRsForWavesPerEU: 45
; AccumOffset: 48
; Occupancy: 8
; WaveLimiterHint : 1
; COMPUTE_PGM_RSRC2:SCRATCH_EN: 0
; COMPUTE_PGM_RSRC2:USER_SGPR: 6
; COMPUTE_PGM_RSRC2:TRAP_HANDLER: 0
; COMPUTE_PGM_RSRC2:TGID_X_EN: 1
; COMPUTE_PGM_RSRC2:TGID_Y_EN: 0
; COMPUTE_PGM_RSRC2:TGID_Z_EN: 0
; COMPUTE_PGM_RSRC2:TIDIG_COMP_CNT: 0
; COMPUTE_PGM_RSRC3_GFX90A:ACCUM_OFFSET: 11
; COMPUTE_PGM_RSRC3_GFX90A:TG_SPLIT: 0
	.section	.text._ZN2at6native12_GLOBAL__N_143distribution_elementwise_grid_stride_kernelIfLi4EZNS0_9templates4cuda20normal_and_transformIN3c104HalfEfPNS_17CUDAGeneratorImplEZZZNS4_13normal_kernelIS9_EEvRKNS_10TensorBaseEddT_ENKUlvE_clEvENKUlvE1_clEvEUlfE_EEvRNS_18TensorIteratorBaseET1_T2_EUlP25hiprandStatePhilox4_32_10E_ZNS1_27distribution_nullary_kernelIS7_f15HIP_vector_typeIdLj2EES9_SO_SH_EEvSJ_SL_RKT3_T4_EUlifE_EEvlNS_15PhiloxCudaStateESK_SL_,"axG",@progbits,_ZN2at6native12_GLOBAL__N_143distribution_elementwise_grid_stride_kernelIfLi4EZNS0_9templates4cuda20normal_and_transformIN3c104HalfEfPNS_17CUDAGeneratorImplEZZZNS4_13normal_kernelIS9_EEvRKNS_10TensorBaseEddT_ENKUlvE_clEvENKUlvE1_clEvEUlfE_EEvRNS_18TensorIteratorBaseET1_T2_EUlP25hiprandStatePhilox4_32_10E_ZNS1_27distribution_nullary_kernelIS7_f15HIP_vector_typeIdLj2EES9_SO_SH_EEvSJ_SL_RKT3_T4_EUlifE_EEvlNS_15PhiloxCudaStateESK_SL_,comdat
	.globl	_ZN2at6native12_GLOBAL__N_143distribution_elementwise_grid_stride_kernelIfLi4EZNS0_9templates4cuda20normal_and_transformIN3c104HalfEfPNS_17CUDAGeneratorImplEZZZNS4_13normal_kernelIS9_EEvRKNS_10TensorBaseEddT_ENKUlvE_clEvENKUlvE1_clEvEUlfE_EEvRNS_18TensorIteratorBaseET1_T2_EUlP25hiprandStatePhilox4_32_10E_ZNS1_27distribution_nullary_kernelIS7_f15HIP_vector_typeIdLj2EES9_SO_SH_EEvSJ_SL_RKT3_T4_EUlifE_EEvlNS_15PhiloxCudaStateESK_SL_ ; -- Begin function _ZN2at6native12_GLOBAL__N_143distribution_elementwise_grid_stride_kernelIfLi4EZNS0_9templates4cuda20normal_and_transformIN3c104HalfEfPNS_17CUDAGeneratorImplEZZZNS4_13normal_kernelIS9_EEvRKNS_10TensorBaseEddT_ENKUlvE_clEvENKUlvE1_clEvEUlfE_EEvRNS_18TensorIteratorBaseET1_T2_EUlP25hiprandStatePhilox4_32_10E_ZNS1_27distribution_nullary_kernelIS7_f15HIP_vector_typeIdLj2EES9_SO_SH_EEvSJ_SL_RKT3_T4_EUlifE_EEvlNS_15PhiloxCudaStateESK_SL_
	.p2align	8
	.type	_ZN2at6native12_GLOBAL__N_143distribution_elementwise_grid_stride_kernelIfLi4EZNS0_9templates4cuda20normal_and_transformIN3c104HalfEfPNS_17CUDAGeneratorImplEZZZNS4_13normal_kernelIS9_EEvRKNS_10TensorBaseEddT_ENKUlvE_clEvENKUlvE1_clEvEUlfE_EEvRNS_18TensorIteratorBaseET1_T2_EUlP25hiprandStatePhilox4_32_10E_ZNS1_27distribution_nullary_kernelIS7_f15HIP_vector_typeIdLj2EES9_SO_SH_EEvSJ_SL_RKT3_T4_EUlifE_EEvlNS_15PhiloxCudaStateESK_SL_,@function
_ZN2at6native12_GLOBAL__N_143distribution_elementwise_grid_stride_kernelIfLi4EZNS0_9templates4cuda20normal_and_transformIN3c104HalfEfPNS_17CUDAGeneratorImplEZZZNS4_13normal_kernelIS9_EEvRKNS_10TensorBaseEddT_ENKUlvE_clEvENKUlvE1_clEvEUlfE_EEvRNS_18TensorIteratorBaseET1_T2_EUlP25hiprandStatePhilox4_32_10E_ZNS1_27distribution_nullary_kernelIS7_f15HIP_vector_typeIdLj2EES9_SO_SH_EEvSJ_SL_RKT3_T4_EUlifE_EEvlNS_15PhiloxCudaStateESK_SL_: ; @_ZN2at6native12_GLOBAL__N_143distribution_elementwise_grid_stride_kernelIfLi4EZNS0_9templates4cuda20normal_and_transformIN3c104HalfEfPNS_17CUDAGeneratorImplEZZZNS4_13normal_kernelIS9_EEvRKNS_10TensorBaseEddT_ENKUlvE_clEvENKUlvE1_clEvEUlfE_EEvRNS_18TensorIteratorBaseET1_T2_EUlP25hiprandStatePhilox4_32_10E_ZNS1_27distribution_nullary_kernelIS7_f15HIP_vector_typeIdLj2EES9_SO_SH_EEvSJ_SL_RKT3_T4_EUlifE_EEvlNS_15PhiloxCudaStateESK_SL_
; %bb.0:
	s_load_dword s2, s[4:5], 0x20
	s_load_dwordx2 s[0:1], s[4:5], 0x10
	s_load_dwordx4 s[8:11], s[4:5], 0x0
	s_waitcnt lgkmcnt(0)
	s_bitcmp0_b32 s2, 0
	s_mov_b32 s2, 0
	v_pk_mov_b32 v[2:3], s[0:1], s[0:1] op_sel:[0,1]
	v_pk_mov_b32 v[12:13], s[10:11], s[10:11] op_sel:[0,1]
	s_cbranch_scc1 .LBB8_2
; %bb.1:
	v_pk_mov_b32 v[2:3], s[0:1], s[0:1] op_sel:[0,1]
	flat_load_dwordx2 v[2:3], v[2:3]
	v_pk_mov_b32 v[4:5], s[10:11], s[10:11] op_sel:[0,1]
	flat_load_dwordx2 v[12:13], v[4:5]
	s_load_dwordx2 s[0:1], s[4:5], 0x18
	s_waitcnt lgkmcnt(0)
	v_mov_b32_e32 v1, s1
	s_waitcnt vmcnt(0)
	v_add_co_u32_e32 v2, vcc, s0, v2
	v_addc_co_u32_e32 v3, vcc, v3, v1, vcc
.LBB8_2:
	s_load_dword s0, s[4:5], 0x54
	s_load_dword s18, s[4:5], 0x48
	s_waitcnt lgkmcnt(0)
	s_and_b32 s7, s0, 0xffff
	s_add_u32 s10, s8, -1
	s_mul_i32 s33, s18, s7
	s_addc_u32 s3, s9, -1
	s_lshl_b32 s38, s33, 2
	s_cmp_lg_u64 s[2:3], 0
	s_mov_b64 s[0:1], -1
	s_cbranch_scc0 .LBB8_23
; %bb.3:
	v_cvt_f32_u32_e32 v1, s38
	v_cvt_f32_ubyte0_e32 v4, 0
	s_sub_u32 s2, 0, s38
	s_subb_u32 s11, 0, 0
	v_madmk_f32 v1, v4, 0x4f800000, v1
	v_rcp_f32_e32 v1, v1
	v_mul_f32_e32 v1, 0x5f7ffffc, v1
	v_mul_f32_e32 v4, 0x2f800000, v1
	v_trunc_f32_e32 v4, v4
	v_madmk_f32 v1, v4, 0xcf800000, v1
	v_cvt_u32_f32_e32 v4, v4
	v_cvt_u32_f32_e32 v1, v1
	v_readfirstlane_b32 s12, v4
	v_readfirstlane_b32 s13, v1
	s_mul_i32 s14, s2, s12
	s_mul_hi_u32 s16, s2, s13
	s_mul_i32 s15, s11, s13
	s_add_i32 s14, s16, s14
	s_add_i32 s14, s14, s15
	s_mul_i32 s17, s2, s13
	s_mul_hi_u32 s15, s13, s14
	s_mul_i32 s16, s13, s14
	s_mul_hi_u32 s13, s13, s17
	s_add_u32 s13, s13, s16
	s_addc_u32 s15, 0, s15
	s_mul_hi_u32 s19, s12, s17
	s_mul_i32 s17, s12, s17
	s_add_u32 s13, s13, s17
	s_mul_hi_u32 s16, s12, s14
	s_addc_u32 s13, s15, s19
	s_addc_u32 s15, s16, 0
	s_mul_i32 s14, s12, s14
	s_add_u32 s13, s13, s14
	s_addc_u32 s14, 0, s15
	v_add_co_u32_e32 v1, vcc, s13, v1
	s_cmp_lg_u64 vcc, 0
	s_addc_u32 s12, s12, s14
	v_readfirstlane_b32 s14, v1
	s_mul_i32 s13, s2, s12
	s_mul_hi_u32 s15, s2, s14
	s_add_i32 s13, s15, s13
	s_mul_i32 s11, s11, s14
	s_add_i32 s13, s13, s11
	s_mul_i32 s2, s2, s14
	s_mul_hi_u32 s15, s12, s2
	s_mul_i32 s16, s12, s2
	s_mul_i32 s19, s14, s13
	s_mul_hi_u32 s2, s14, s2
	s_mul_hi_u32 s17, s14, s13
	s_add_u32 s2, s2, s19
	s_addc_u32 s14, 0, s17
	s_add_u32 s2, s2, s16
	s_mul_hi_u32 s11, s12, s13
	s_addc_u32 s2, s14, s15
	s_addc_u32 s11, s11, 0
	s_mul_i32 s13, s12, s13
	s_add_u32 s2, s2, s13
	s_addc_u32 s11, 0, s11
	v_add_co_u32_e32 v1, vcc, s2, v1
	s_cmp_lg_u64 vcc, 0
	s_addc_u32 s11, s12, s11
	s_ashr_i32 s12, s3, 31
	s_add_u32 s2, s10, s12
	s_mov_b32 s13, s12
	s_addc_u32 s3, s3, s12
	s_xor_b64 s[2:3], s[2:3], s[12:13]
	v_readfirstlane_b32 s16, v1
	s_mul_i32 s15, s2, s11
	s_mul_hi_u32 s17, s2, s16
	s_mul_hi_u32 s14, s2, s11
	s_add_u32 s15, s17, s15
	s_addc_u32 s14, 0, s14
	s_mul_hi_u32 s19, s3, s16
	s_mul_i32 s16, s3, s16
	s_add_u32 s15, s15, s16
	s_mul_hi_u32 s17, s3, s11
	s_addc_u32 s14, s14, s19
	s_addc_u32 s15, s17, 0
	s_mul_i32 s11, s3, s11
	s_add_u32 s11, s14, s11
	s_addc_u32 s14, 0, s15
	s_add_u32 s15, s11, 1
	s_addc_u32 s16, s14, 0
	s_add_u32 s17, s11, 2
	s_mul_i32 s20, s38, s14
	s_mul_hi_u32 s21, s38, s11
	s_addc_u32 s19, s14, 0
	s_add_i32 s21, s21, s20
	s_mul_i32 s20, s38, s11
	v_mov_b32_e32 v1, s20
	v_sub_co_u32_e32 v1, vcc, s2, v1
	s_cmp_lg_u64 vcc, 0
	s_subb_u32 s2, s3, s21
	v_subrev_co_u32_e32 v4, vcc, s38, v1
	s_cmp_lg_u64 vcc, 0
	s_subb_u32 s3, s2, 0
	v_readfirstlane_b32 s20, v4
	s_cmp_ge_u32 s20, s38
	s_cselect_b32 s20, -1, 0
	s_cmp_eq_u32 s3, 0
	s_cselect_b32 s3, s20, -1
	s_cmp_lg_u32 s3, 0
	s_cselect_b32 s3, s19, s16
	v_readfirstlane_b32 s16, v1
	s_cselect_b32 s15, s17, s15
	s_cmp_ge_u32 s16, s38
	s_cselect_b32 s16, -1, 0
	s_cmp_eq_u32 s2, 0
	s_cselect_b32 s2, s16, -1
	s_cmp_lg_u32 s2, 0
	s_cselect_b32 s3, s3, s14
	s_cselect_b32 s2, s15, s11
	s_xor_b64 s[2:3], s[2:3], s[12:13]
	s_sub_u32 s2, s2, s12
	s_subb_u32 s3, s3, s12
	s_cbranch_execnz .LBB8_5
.LBB8_4:
	v_cvt_f32_u32_e32 v1, s38
	s_sub_i32 s0, 0, s38
	s_mov_b32 s3, 0
	v_rcp_iflag_f32_e32 v1, v1
	v_mul_f32_e32 v1, 0x4f7ffffe, v1
	v_cvt_u32_f32_e32 v1, v1
	v_readfirstlane_b32 s1, v1
	s_mul_i32 s0, s0, s1
	s_mul_hi_u32 s0, s1, s0
	s_add_i32 s1, s1, s0
	s_mul_hi_u32 s0, s10, s1
	s_mul_i32 s2, s0, s38
	s_sub_i32 s2, s10, s2
	s_add_i32 s1, s0, 1
	s_sub_i32 s10, s2, s38
	s_cmp_ge_u32 s2, s38
	s_cselect_b32 s0, s1, s0
	s_cselect_b32 s2, s10, s2
	s_add_i32 s1, s0, 1
	s_cmp_ge_u32 s2, s38
	s_cselect_b32 s2, s1, s0
.LBB8_5:
	v_mov_b32_e32 v1, 0
	v_mov_b32_e32 v4, s6
	v_mad_u64_u32 v[14:15], s[0:1], s7, v4, v[0:1]
	s_add_u32 s0, s2, 1
	s_addc_u32 s1, s3, 0
	s_mul_hi_u32 s2, s18, s7
	s_mul_i32 s1, s33, s1
	s_mul_hi_u32 s3, s33, s0
	s_add_i32 s1, s3, s1
	s_mul_i32 s2, s2, s0
	s_add_i32 s1, s1, s2
	s_mul_i32 s0, s33, s0
	s_lshl_b64 s[10:11], s[0:1], 2
	v_cmp_gt_i64_e32 vcc, s[10:11], v[14:15]
	s_and_saveexec_b64 s[0:1], vcc
	s_cbranch_execz .LBB8_22
; %bb.6:
	s_mov_b32 s0, 0x5384540f
	v_mov_b32_e32 v4, v13
	v_add_co_u32_e32 v58, vcc, s0, v12
	s_mov_b32 s0, 0x646e171e
	v_add_co_u32_e32 v59, vcc, s0, v4
	s_mov_b32 s0, 0x1715609d
	;; [unrolled: 2-line block ×6, first 2 shown]
	v_alignbit_b32 v65, v3, v2, 2
	s_mov_b32 s39, 0xd2511f53
	v_add_co_u32_e32 v64, vcc, s0, v12
	v_mad_u64_u32 v[6:7], s[0:1], v65, s39, 0
	v_and_b32_e32 v54, 3, v2
	v_xor_b32_e32 v2, v7, v13
	v_xor_b32_e32 v2, v2, v15
	s_mov_b32 s40, 0xcd9e8d57
	v_mad_u64_u32 v[8:9], s[0:1], v2, s40, 0
	v_xor_b32_e32 v2, v64, v9
	v_mad_u64_u32 v[10:11], s[0:1], v14, s40, 0
	v_xor_b32_e32 v2, v2, v10
	;; [unrolled: 2-line block ×3, first 2 shown]
	v_lshrrev_b32_e32 v66, 2, v3
	v_xor_b32_e32 v2, v2, v66
	v_xor_b32_e32 v5, v63, v17
	v_mad_u64_u32 v[2:3], s[0:1], v2, s39, 0
	v_xor_b32_e32 v2, v5, v2
	v_mad_u64_u32 v[10:11], s[0:1], v2, s40, 0
	s_mov_b32 s0, 0xbb67ae85
	v_add_co_u32_e32 v67, vcc, s0, v4
	v_xor_b32_e32 v2, v67, v3
	v_xor_b32_e32 v2, v2, v6
	v_xor_b32_e32 v5, v62, v11
	v_mad_u64_u32 v[2:3], s[0:1], v2, s40, 0
	v_xor_b32_e32 v2, v5, v2
	v_mad_u64_u32 v[6:7], s[0:1], v2, s39, 0
	s_mov_b32 s0, 0x3c6ef372
	v_add_co_u32_e32 v68, vcc, s0, v12
	v_xor_b32_e32 v2, v68, v3
	;; [unrolled: 8-line block ×6, first 2 shown]
	v_add_co_u32_e32 v57, vcc, 0xdb3d7428, v4
	v_xor_b32_e32 v2, v2, v8
	v_xor_b32_e32 v5, v57, v19
	v_mad_u64_u32 v[2:3], s[0:1], v2, s39, 0
	v_xor_b32_e32 v2, v5, v2
	v_mad_u64_u32 v[20:21], s[0:1], v2, s40, 0
	s_mov_b32 s0, 0x1fd5c5a3
	v_add_co_u32_e32 v73, vcc, s0, v4
	v_xor_b32_e32 v2, v73, v3
	v_xor_b32_e32 v2, v2, v16
	v_mad_u64_u32 v[2:3], s[0:1], v2, s40, 0
	s_mov_b32 s0, 0xf1bbcdc8
	v_add_u32_e32 v55, 0x8ff34781, v12
	v_xor_b32_e32 v2, v21, v2
	v_add_co_u32_e32 v74, vcc, s0, v12
	s_load_dwordx4 s[12:15], s[4:5], 0x38
	s_load_dwordx2 s[16:17], s[4:5], 0x30
	v_xor_b32_e32 v6, v55, v2
	v_xor_b32_e32 v2, v74, v3
	;; [unrolled: 1-line block ×3, first 2 shown]
	v_mad_u64_u32 v[2:3], s[0:1], v2, s39, 0
	s_mul_i32 s0, s6, s7
	v_mov_b32_e32 v9, v2
	v_add_u32_e32 v2, s0, v0
	s_waitcnt lgkmcnt(0)
	s_mul_i32 s0, s18, s12
	s_mul_i32 s0, s0, s7
	s_lshl_b32 s41, s0, 2
	s_add_i32 s0, s6, s18
	s_mul_i32 s0, s0, s7
	s_mov_b32 s15, 0
	v_add_u32_e32 v56, 0x96a522ad, v13
	v_xor_b32_e32 v3, v3, v18
	v_add_u32_e32 v0, s0, v0
	s_mov_b32 s6, 0x55555555
	s_mov_b32 s18, 0xbf559e2b
	s_mov_b32 s20, 0xfefa39ef
	s_mov_b32 s22, 0x3b39803f
	s_mov_b32 s24, 0
	s_mov_b32 s26, 0
	s_mov_b32 s28, 0xf99eb0bb
	s_mov_b32 s30, 0x54442d18
	s_mov_b32 s34, 0x2e21c33
	v_xor_b32_e32 v8, v56, v3
	v_mov_b32_e32 v7, v20
	v_mul_lo_u32 v75, s12, v2
	v_mul_lo_u32 v76, s12, v0
	s_mov_b64 s[4:5], 0
	s_mov_b32 s7, 0x3fe55555
	s_mov_b32 s19, 0x3fc3ab76
	;; [unrolled: 1-line block ×5, first 2 shown]
	s_brev_b32 s27, 8
	s_mov_b32 s29, 0x3f3e357e
	s_mov_b32 s31, 0x400921fb
	s_mov_b32 s35, 0xbf1b1673
	v_mov_b32_e32 v16, 0x6b47b09a
	v_mov_b32_e32 v17, 0x3fc38538
	;; [unrolled: 1-line block ×34, first 2 shown]
	s_mov_b32 s12, s15
	v_mov_b32_e32 v77, 0x260
	v_mov_b32_e32 v78, 0x7ff00000
	;; [unrolled: 1-line block ×6, first 2 shown]
	s_branch .LBB8_8
.LBB8_7:                                ;   in Loop: Header=BB8_8 Depth=1
	s_or_b64 exec, exec, s[36:37]
	v_add_co_u32_e32 v14, vcc, s38, v14
	v_mov_b32_e32 v5, v50
	v_addc_co_u32_e32 v15, vcc, 0, v15, vcc
	s_add_i32 s12, s12, s41
	v_cmp_le_i64_e32 vcc, s[10:11], v[14:15]
	v_pk_mov_b32 v[8:9], v[4:5], v[4:5] op_sel:[0,1]
	s_or_b64 s[4:5], vcc, s[4:5]
	v_pk_mov_b32 v[6:7], v[2:3], v[2:3] op_sel:[0,1]
	s_barrier
	s_andn2_b64 exec, exec, s[4:5]
	s_cbranch_execz .LBB8_22
.LBB8_8:                                ; =>This Inner Loop Header: Depth=1
	v_add_co_u32_e32 v65, vcc, 1, v65
	v_cndmask_b32_e64 v0, 0, 1, vcc
	v_addc_co_u32_e32 v66, vcc, 0, v66, vcc
	v_cmp_eq_u32_e32 vcc, 0, v66
	v_cndmask_b32_e32 v0, 0, v0, vcc
	v_add_u32_e32 v81, v0, v81
	v_cmp_eq_u32_e32 vcc, 0, v81
	v_cndmask_b32_e32 v0, 0, v0, vcc
	v_mad_u64_u32 v[2:3], s[0:1], v65, s39, 0
	v_mad_u64_u32 v[4:5], s[0:1], v81, s40, 0
	v_add_u32_e32 v82, v0, v82
	v_xor_b32_e32 v0, v5, v12
	v_xor_b32_e32 v3, v3, v13
	v_xor_b32_e32 v0, v66, v0
	v_xor_b32_e32 v3, v82, v3
	v_mad_u64_u32 v[10:11], s[0:1], v0, s39, 0
	v_mad_u64_u32 v[50:51], s[0:1], v3, s40, 0
	v_xor_b32_e32 v0, v64, v51
	v_xor_b32_e32 v3, v67, v11
	v_xor_b32_e32 v0, v0, v4
	v_xor_b32_e32 v4, v3, v2
	v_mad_u64_u32 v[2:3], s[0:1], v0, s39, 0
	v_mad_u64_u32 v[4:5], s[0:1], v4, s40, 0
	;; [unrolled: 6-line block ×9, first 2 shown]
	v_xor_b32_e32 v0, v11, v2
	v_xor_b32_e32 v2, v55, v0
	v_xor_b32_e32 v0, v51, v4
	v_xor_b32_e32 v11, v56, v0
	v_mov_b32_e32 v3, v10
	v_mov_b32_e32 v4, v11
	v_cmp_lt_i32_e32 vcc, 1, v54
	s_and_saveexec_b64 s[0:1], vcc
	s_xor_b64 s[0:1], exec, s[0:1]
	s_cbranch_execz .LBB8_14
; %bb.9:                                ;   in Loop: Header=BB8_8 Depth=1
	v_cmp_lt_i32_e32 vcc, 2, v54
	s_and_saveexec_b64 s[2:3], vcc
	s_xor_b64 s[2:3], exec, s[2:3]
; %bb.10:                               ;   in Loop: Header=BB8_8 Depth=1
	v_mov_b32_e32 v8, v9
	v_mov_b32_e32 v9, v2
	v_pk_mov_b32 v[6:7], v[8:9], v[8:9] op_sel:[0,1]
	v_pk_mov_b32 v[8:9], v[10:11], v[10:11] op_sel:[0,1]
                                        ; implicit-def: $vgpr10_vgpr11
; %bb.11:                               ;   in Loop: Header=BB8_8 Depth=1
	s_andn2_saveexec_b64 s[2:3], s[2:3]
; %bb.12:                               ;   in Loop: Header=BB8_8 Depth=1
	v_mov_b32_e32 v6, v8
	v_mov_b32_e32 v7, v9
	;; [unrolled: 1-line block ×4, first 2 shown]
; %bb.13:                               ;   in Loop: Header=BB8_8 Depth=1
	s_or_b64 exec, exec, s[2:3]
.LBB8_14:                               ;   in Loop: Header=BB8_8 Depth=1
	s_andn2_saveexec_b64 s[0:1], s[0:1]
	s_cbranch_execz .LBB8_18
; %bb.15:                               ;   in Loop: Header=BB8_8 Depth=1
	v_cmp_eq_u32_e32 vcc, 1, v54
	s_and_saveexec_b64 s[2:3], vcc
; %bb.16:                               ;   in Loop: Header=BB8_8 Depth=1
	v_mov_b32_e32 v6, v7
	v_mov_b32_e32 v7, v8
	;; [unrolled: 1-line block ×4, first 2 shown]
; %bb.17:                               ;   in Loop: Header=BB8_8 Depth=1
	s_or_b64 exec, exec, s[2:3]
.LBB8_18:                               ;   in Loop: Header=BB8_8 Depth=1
	s_or_b64 exec, exec, s[0:1]
	v_mov_b32_e32 v0, v7
	v_lshlrev_b64 v[10:11], 21, v[0:1]
	v_xor_b32_e32 v0, v10, v6
	v_cvt_f64_u32_e32 v[6:7], v11
	v_ldexp_f64 v[6:7], v[6:7], 32
	v_cvt_f64_u32_e32 v[10:11], v0
	v_add_f64 v[6:7], v[6:7], v[10:11]
	v_mov_b32_e32 v10, 0
	v_mov_b32_e32 v11, 0x3ca00000
	v_fmac_f64_e32 v[10:11], 0x3ca00000, v[6:7]
	v_frexp_mant_f64_e32 v[52:53], v[10:11]
	v_cmp_gt_f64_e32 vcc, s[6:7], v[52:53]
	v_mov_b32_e32 v5, 0x3ff00000
	v_cndmask_b32_e64 v85, v5, 2.0, vcc
	v_mov_b32_e32 v84, v1
	v_mul_f64 v[52:53], v[52:53], v[84:85]
	v_add_f64 v[84:85], v[52:53], 1.0
	v_rcp_f64_e32 v[86:87], v[84:85]
	v_add_f64 v[90:91], v[84:85], -1.0
	v_add_f64 v[88:89], v[52:53], -1.0
	v_add_f64 v[52:53], v[52:53], -v[90:91]
	v_fma_f64 v[90:91], -v[84:85], v[86:87], 1.0
	v_fmac_f64_e32 v[86:87], v[90:91], v[86:87]
	v_fma_f64 v[90:91], -v[84:85], v[86:87], 1.0
	v_fmac_f64_e32 v[86:87], v[90:91], v[86:87]
	v_mul_f64 v[90:91], v[88:89], v[86:87]
	v_mul_f64 v[92:93], v[84:85], v[90:91]
	v_fma_f64 v[84:85], v[90:91], v[84:85], -v[92:93]
	v_fmac_f64_e32 v[84:85], v[90:91], v[52:53]
	v_add_f64 v[52:53], v[92:93], v[84:85]
	v_add_f64 v[94:95], v[88:89], -v[52:53]
	v_add_f64 v[92:93], v[52:53], -v[92:93]
	;; [unrolled: 1-line block ×5, first 2 shown]
	v_add_f64 v[52:53], v[84:85], v[52:53]
	v_add_f64 v[52:53], v[94:95], v[52:53]
	v_mul_f64 v[52:53], v[86:87], v[52:53]
	v_add_f64 v[84:85], v[90:91], v[52:53]
	v_add_f64 v[86:87], v[84:85], -v[90:91]
	v_add_f64 v[52:53], v[52:53], -v[86:87]
	v_mul_f64 v[86:87], v[84:85], v[84:85]
	v_pk_mov_b32 v[88:89], v[16:17], v[16:17] op_sel:[0,1]
	v_fmac_f64_e32 v[88:89], s[18:19], v[86:87]
	v_pk_mov_b32 v[90:91], v[18:19], v[18:19] op_sel:[0,1]
	v_fmac_f64_e32 v[90:91], v[86:87], v[88:89]
	;; [unrolled: 2-line block ×6, first 2 shown]
	v_ldexp_f64 v[88:89], v[84:85], 1
	v_mul_f64 v[84:85], v[84:85], v[86:87]
	v_mul_f64 v[84:85], v[84:85], v[90:91]
	v_add_f64 v[86:87], v[88:89], v[84:85]
	v_mov_b32_e32 v0, v9
	v_add_f64 v[88:89], v[86:87], -v[88:89]
	v_lshlrev_b64 v[6:7], 21, v[0:1]
	v_ldexp_f64 v[52:53], v[52:53], 1
	v_add_f64 v[84:85], v[84:85], -v[88:89]
	v_xor_b32_e32 v0, v6, v8
	v_add_f64 v[52:53], v[52:53], v[84:85]
	v_cvt_f64_u32_e32 v[8:9], v0
	v_frexp_exp_i32_f64_e32 v0, v[10:11]
	v_add_f64 v[84:85], v[86:87], v[52:53]
	v_subbrev_co_u32_e32 v0, vcc, 0, v0, vcc
	v_add_f64 v[86:87], v[84:85], -v[86:87]
	v_add_f64 v[52:53], v[52:53], -v[86:87]
	v_cvt_f64_i32_e32 v[86:87], v0
	v_mul_f64 v[88:89], v[86:87], s[20:21]
	v_fma_f64 v[90:91], v[86:87], s[20:21], -v[88:89]
	v_fmac_f64_e32 v[90:91], s[22:23], v[86:87]
	v_add_f64 v[86:87], v[88:89], v[90:91]
	v_add_f64 v[88:89], v[86:87], -v[88:89]
	v_add_f64 v[88:89], v[90:91], -v[88:89]
	v_add_f64 v[90:91], v[86:87], v[84:85]
	v_add_f64 v[92:93], v[90:91], -v[86:87]
	v_add_f64 v[94:95], v[90:91], -v[92:93]
	;; [unrolled: 1-line block ×4, first 2 shown]
	v_add_f64 v[84:85], v[84:85], v[86:87]
	v_add_f64 v[86:87], v[88:89], v[52:53]
	v_add_f64 v[92:93], v[86:87], -v[88:89]
	v_add_f64 v[94:95], v[86:87], -v[92:93]
	v_add_f64 v[84:85], v[86:87], v[84:85]
	v_add_f64 v[88:89], v[88:89], -v[94:95]
	v_add_f64 v[52:53], v[52:53], -v[92:93]
	v_add_f64 v[86:87], v[90:91], v[84:85]
	v_add_f64 v[52:53], v[52:53], v[88:89]
	v_add_f64 v[88:89], v[86:87], -v[90:91]
	v_add_f64 v[84:85], v[84:85], -v[88:89]
	v_add_f64 v[52:53], v[52:53], v[84:85]
	v_add_f64 v[52:53], v[86:87], v[52:53]
	v_cmp_eq_f64_e32 vcc, s[24:25], v[10:11]
	v_cndmask_b32_e32 v53, v53, v11, vcc
	v_cndmask_b32_e32 v52, v52, v10, vcc
	v_mul_f64 v[52:53], v[52:53], -2.0
	v_cmp_neq_f64_e32 vcc, 0, v[10:11]
	v_cndmask_b32_e32 v11, v78, v53, vcc
	v_cndmask_b32_e32 v10, 0, v52, vcc
	v_cmp_gt_f64_e32 vcc, s[26:27], v[10:11]
	v_cndmask_b32_e64 v0, 0, 1, vcc
	v_lshlrev_b32_e32 v0, 8, v0
	v_ldexp_f64 v[10:11], v[10:11], v0
	v_cvt_f64_u32_e32 v[6:7], v7
	v_rsq_f64_e32 v[52:53], v[10:11]
	v_ldexp_f64 v[6:7], v[6:7], 32
	v_add_f64 v[6:7], v[6:7], v[8:9]
	v_mov_b32_e32 v8, 0
	v_mov_b32_e32 v9, 0x3cb00000
	v_fmac_f64_e32 v[8:9], 0x3cb00000, v[6:7]
	v_mul_f64 v[6:7], v[10:11], v[52:53]
	v_mul_f64 v[52:53], v[52:53], 0.5
	v_fma_f64 v[84:85], -v[52:53], v[6:7], 0.5
	v_fmac_f64_e32 v[6:7], v[6:7], v[84:85]
	v_fma_f64 v[86:87], -v[6:7], v[6:7], v[10:11]
	v_fmac_f64_e32 v[52:53], v[52:53], v[84:85]
	v_fmac_f64_e32 v[6:7], v[86:87], v[52:53]
	v_fma_f64 v[84:85], -v[6:7], v[6:7], v[10:11]
	v_fmac_f64_e32 v[6:7], v[84:85], v[52:53]
	v_cndmask_b32_e32 v0, 0, v79, vcc
	v_ldexp_f64 v[6:7], v[6:7], v0
	v_cmp_class_f64_e32 vcc, v[10:11], v77
	v_cndmask_b32_e32 v7, v7, v11, vcc
	v_cndmask_b32_e32 v6, v6, v10, vcc
	v_mul_f64 v[10:11], v[8:9], 0.5
	v_fract_f64_e32 v[52:53], v[10:11]
	v_add_f64 v[52:53], v[52:53], v[52:53]
	v_cmp_neq_f64_e32 vcc, s[24:25], v[10:11]
	v_cndmask_b32_e32 v0, 0, v52, vcc
	v_cndmask_b32_e32 v5, 0, v53, vcc
	v_cmp_lt_f64_e32 vcc, 1.0, v[8:9]
	v_cndmask_b32_e32 v53, v9, v5, vcc
	v_cndmask_b32_e32 v52, v8, v0, vcc
	v_add_f64 v[10:11], v[52:53], v[52:53]
	v_rndne_f64_e32 v[10:11], v[10:11]
	v_fmac_f64_e32 v[52:53], -0.5, v[10:11]
	v_cvt_i32_f64_e32 v5, v[10:11]
	v_mul_f64 v[84:85], v[52:53], v[52:53]
	v_pk_mov_b32 v[10:11], v[28:29], v[28:29] op_sel:[0,1]
	v_fmac_f64_e32 v[10:11], s[28:29], v[84:85]
	v_pk_mov_b32 v[86:87], v[30:31], v[30:31] op_sel:[0,1]
	v_fmac_f64_e32 v[86:87], v[84:85], v[10:11]
	;; [unrolled: 2-line block ×5, first 2 shown]
	v_mul_f64 v[86:87], v[52:53], v[84:85]
	v_mul_f64 v[10:11], v[86:87], v[10:11]
	v_fmac_f64_e32 v[10:11], s[30:31], v[52:53]
	v_pk_mov_b32 v[52:53], v[38:39], v[38:39] op_sel:[0,1]
	v_fmac_f64_e32 v[52:53], s[34:35], v[84:85]
	v_pk_mov_b32 v[86:87], v[40:41], v[40:41] op_sel:[0,1]
	;; [unrolled: 2-line block ×6, first 2 shown]
	v_fmac_f64_e32 v[86:87], v[84:85], v[52:53]
	v_lshlrev_b32_e32 v0, 30, v5
	v_and_b32_e32 v5, 1, v5
	v_fma_f64 v[52:53], v[84:85], v[86:87], 1.0
	v_cmp_eq_u32_e64 s[0:1], 0, v5
	v_cmp_lg_f64_e32 vcc, s[24:25], v[8:9]
	v_cmp_gt_i64_e64 s[2:3], s[8:9], v[14:15]
	s_and_saveexec_b64 s[36:37], s[2:3]
	s_cbranch_execz .LBB8_20
; %bb.19:                               ;   in Loop: Header=BB8_8 Depth=1
	v_xor_b32_e32 v9, v0, v9
	v_cndmask_b32_e64 v8, v53, v11, s[0:1]
	v_and_b32_e32 v9, 0x80000000, v9
	v_cndmask_b32_e64 v5, v52, v10, s[0:1]
	v_xor_b32_e32 v9, v8, v9
	v_cndmask_b32_e32 v8, 0, v5, vcc
	v_cndmask_b32_e32 v9, v80, v9, vcc
	v_mul_f64 v[8:9], v[6:7], v[8:9]
	v_cvt_f32_f64_e32 v5, v[8:9]
	v_add_u32_e32 v8, s12, v75
	v_ashrrev_i32_e32 v9, 31, v8
	v_mov_b32_e32 v51, s17
	v_add_co_u32_e64 v8, s[2:3], s16, v8
	v_addc_co_u32_e64 v9, s[2:3], v51, v9, s[2:3]
	v_mov_b32_e32 v51, s13
	v_fma_mixlo_f16 v5, s14, v5, v51
	global_store_short v[8:9], v5, off
.LBB8_20:                               ;   in Loop: Header=BB8_8 Depth=1
	s_or_b64 exec, exec, s[36:37]
	v_mov_b32_e32 v5, s15
	v_add_co_u32_e64 v8, s[2:3], s33, v14
	v_addc_co_u32_e64 v9, s[2:3], v5, v15, s[2:3]
	v_cmp_gt_i64_e64 s[2:3], s[8:9], v[8:9]
	s_and_saveexec_b64 s[36:37], s[2:3]
	s_cbranch_execz .LBB8_7
; %bb.21:                               ;   in Loop: Header=BB8_8 Depth=1
	v_xor_b32_e32 v5, 0x80000000, v11
	v_and_b32_e32 v0, 0x80000000, v0
	v_cndmask_b32_e64 v5, v5, v53, s[0:1]
	v_cndmask_b32_e64 v8, v10, v52, s[0:1]
	v_xor_b32_e32 v0, v5, v0
	v_cndmask_b32_e32 v9, v80, v0, vcc
	v_cndmask_b32_e32 v8, 0, v8, vcc
	v_mul_f64 v[6:7], v[6:7], v[8:9]
	v_add_u32_e32 v5, s12, v76
	v_cvt_f32_f64_e32 v0, v[6:7]
	v_ashrrev_i32_e32 v7, 31, v5
	v_mov_b32_e32 v8, s17
	v_add_co_u32_e32 v6, vcc, s16, v5
	v_mov_b32_e32 v5, s13
	v_addc_co_u32_e32 v7, vcc, v8, v7, vcc
	v_fma_mixlo_f16 v0, s14, v0, v5
	global_store_short v[6:7], v0, off
	s_branch .LBB8_7
.LBB8_22:
	s_endpgm
.LBB8_23:
                                        ; implicit-def: $sgpr2_sgpr3
	s_andn2_b64 vcc, exec, s[0:1]
	s_cbranch_vccz .LBB8_4
	s_branch .LBB8_5
	.section	.rodata,"a",@progbits
	.p2align	6, 0x0
	.amdhsa_kernel _ZN2at6native12_GLOBAL__N_143distribution_elementwise_grid_stride_kernelIfLi4EZNS0_9templates4cuda20normal_and_transformIN3c104HalfEfPNS_17CUDAGeneratorImplEZZZNS4_13normal_kernelIS9_EEvRKNS_10TensorBaseEddT_ENKUlvE_clEvENKUlvE1_clEvEUlfE_EEvRNS_18TensorIteratorBaseET1_T2_EUlP25hiprandStatePhilox4_32_10E_ZNS1_27distribution_nullary_kernelIS7_f15HIP_vector_typeIdLj2EES9_SO_SH_EEvSJ_SL_RKT3_T4_EUlifE_EEvlNS_15PhiloxCudaStateESK_SL_
		.amdhsa_group_segment_fixed_size 0
		.amdhsa_private_segment_fixed_size 0
		.amdhsa_kernarg_size 328
		.amdhsa_user_sgpr_count 6
		.amdhsa_user_sgpr_private_segment_buffer 1
		.amdhsa_user_sgpr_dispatch_ptr 0
		.amdhsa_user_sgpr_queue_ptr 0
		.amdhsa_user_sgpr_kernarg_segment_ptr 1
		.amdhsa_user_sgpr_dispatch_id 0
		.amdhsa_user_sgpr_flat_scratch_init 0
		.amdhsa_user_sgpr_kernarg_preload_length 0
		.amdhsa_user_sgpr_kernarg_preload_offset 0
		.amdhsa_user_sgpr_private_segment_size 0
		.amdhsa_uses_dynamic_stack 0
		.amdhsa_system_sgpr_private_segment_wavefront_offset 0
		.amdhsa_system_sgpr_workgroup_id_x 1
		.amdhsa_system_sgpr_workgroup_id_y 0
		.amdhsa_system_sgpr_workgroup_id_z 0
		.amdhsa_system_sgpr_workgroup_info 0
		.amdhsa_system_vgpr_workitem_id 0
		.amdhsa_next_free_vgpr 96
		.amdhsa_next_free_sgpr 42
		.amdhsa_accum_offset 96
		.amdhsa_reserve_vcc 1
		.amdhsa_reserve_flat_scratch 0
		.amdhsa_float_round_mode_32 0
		.amdhsa_float_round_mode_16_64 0
		.amdhsa_float_denorm_mode_32 3
		.amdhsa_float_denorm_mode_16_64 3
		.amdhsa_dx10_clamp 1
		.amdhsa_ieee_mode 1
		.amdhsa_fp16_overflow 0
		.amdhsa_tg_split 0
		.amdhsa_exception_fp_ieee_invalid_op 0
		.amdhsa_exception_fp_denorm_src 0
		.amdhsa_exception_fp_ieee_div_zero 0
		.amdhsa_exception_fp_ieee_overflow 0
		.amdhsa_exception_fp_ieee_underflow 0
		.amdhsa_exception_fp_ieee_inexact 0
		.amdhsa_exception_int_div_zero 0
	.end_amdhsa_kernel
	.section	.text._ZN2at6native12_GLOBAL__N_143distribution_elementwise_grid_stride_kernelIfLi4EZNS0_9templates4cuda20normal_and_transformIN3c104HalfEfPNS_17CUDAGeneratorImplEZZZNS4_13normal_kernelIS9_EEvRKNS_10TensorBaseEddT_ENKUlvE_clEvENKUlvE1_clEvEUlfE_EEvRNS_18TensorIteratorBaseET1_T2_EUlP25hiprandStatePhilox4_32_10E_ZNS1_27distribution_nullary_kernelIS7_f15HIP_vector_typeIdLj2EES9_SO_SH_EEvSJ_SL_RKT3_T4_EUlifE_EEvlNS_15PhiloxCudaStateESK_SL_,"axG",@progbits,_ZN2at6native12_GLOBAL__N_143distribution_elementwise_grid_stride_kernelIfLi4EZNS0_9templates4cuda20normal_and_transformIN3c104HalfEfPNS_17CUDAGeneratorImplEZZZNS4_13normal_kernelIS9_EEvRKNS_10TensorBaseEddT_ENKUlvE_clEvENKUlvE1_clEvEUlfE_EEvRNS_18TensorIteratorBaseET1_T2_EUlP25hiprandStatePhilox4_32_10E_ZNS1_27distribution_nullary_kernelIS7_f15HIP_vector_typeIdLj2EES9_SO_SH_EEvSJ_SL_RKT3_T4_EUlifE_EEvlNS_15PhiloxCudaStateESK_SL_,comdat
.Lfunc_end8:
	.size	_ZN2at6native12_GLOBAL__N_143distribution_elementwise_grid_stride_kernelIfLi4EZNS0_9templates4cuda20normal_and_transformIN3c104HalfEfPNS_17CUDAGeneratorImplEZZZNS4_13normal_kernelIS9_EEvRKNS_10TensorBaseEddT_ENKUlvE_clEvENKUlvE1_clEvEUlfE_EEvRNS_18TensorIteratorBaseET1_T2_EUlP25hiprandStatePhilox4_32_10E_ZNS1_27distribution_nullary_kernelIS7_f15HIP_vector_typeIdLj2EES9_SO_SH_EEvSJ_SL_RKT3_T4_EUlifE_EEvlNS_15PhiloxCudaStateESK_SL_, .Lfunc_end8-_ZN2at6native12_GLOBAL__N_143distribution_elementwise_grid_stride_kernelIfLi4EZNS0_9templates4cuda20normal_and_transformIN3c104HalfEfPNS_17CUDAGeneratorImplEZZZNS4_13normal_kernelIS9_EEvRKNS_10TensorBaseEddT_ENKUlvE_clEvENKUlvE1_clEvEUlfE_EEvRNS_18TensorIteratorBaseET1_T2_EUlP25hiprandStatePhilox4_32_10E_ZNS1_27distribution_nullary_kernelIS7_f15HIP_vector_typeIdLj2EES9_SO_SH_EEvSJ_SL_RKT3_T4_EUlifE_EEvlNS_15PhiloxCudaStateESK_SL_
                                        ; -- End function
	.section	.AMDGPU.csdata,"",@progbits
; Kernel info:
; codeLenInByte = 3824
; NumSgprs: 46
; NumVgprs: 96
; NumAgprs: 0
; TotalNumVgprs: 96
; ScratchSize: 0
; MemoryBound: 0
; FloatMode: 240
; IeeeMode: 1
; LDSByteSize: 0 bytes/workgroup (compile time only)
; SGPRBlocks: 5
; VGPRBlocks: 11
; NumSGPRsForWavesPerEU: 46
; NumVGPRsForWavesPerEU: 96
; AccumOffset: 96
; Occupancy: 5
; WaveLimiterHint : 0
; COMPUTE_PGM_RSRC2:SCRATCH_EN: 0
; COMPUTE_PGM_RSRC2:USER_SGPR: 6
; COMPUTE_PGM_RSRC2:TRAP_HANDLER: 0
; COMPUTE_PGM_RSRC2:TGID_X_EN: 1
; COMPUTE_PGM_RSRC2:TGID_Y_EN: 0
; COMPUTE_PGM_RSRC2:TGID_Z_EN: 0
; COMPUTE_PGM_RSRC2:TIDIG_COMP_CNT: 0
; COMPUTE_PGM_RSRC3_GFX90A:ACCUM_OFFSET: 23
; COMPUTE_PGM_RSRC3_GFX90A:TG_SPLIT: 0
	.section	.text._ZN2at6native12_GLOBAL__N_143distribution_elementwise_grid_stride_kernelIfLi4EZNS0_9templates4cuda20normal_and_transformIN3c104HalfEfPNS_17CUDAGeneratorImplEZZZNS4_13normal_kernelIS9_EEvRKNS_10TensorBaseEddT_ENKUlvE_clEvENKUlvE1_clEvEUlfE_EEvRNS_18TensorIteratorBaseET1_T2_EUlP25hiprandStatePhilox4_32_10E_ZNS1_27distribution_nullary_kernelIS7_f15HIP_vector_typeIdLj2EES9_SO_SH_EEvSJ_SL_RKT3_T4_EUlifE0_EEvlNS_15PhiloxCudaStateESK_SL_,"axG",@progbits,_ZN2at6native12_GLOBAL__N_143distribution_elementwise_grid_stride_kernelIfLi4EZNS0_9templates4cuda20normal_and_transformIN3c104HalfEfPNS_17CUDAGeneratorImplEZZZNS4_13normal_kernelIS9_EEvRKNS_10TensorBaseEddT_ENKUlvE_clEvENKUlvE1_clEvEUlfE_EEvRNS_18TensorIteratorBaseET1_T2_EUlP25hiprandStatePhilox4_32_10E_ZNS1_27distribution_nullary_kernelIS7_f15HIP_vector_typeIdLj2EES9_SO_SH_EEvSJ_SL_RKT3_T4_EUlifE0_EEvlNS_15PhiloxCudaStateESK_SL_,comdat
	.globl	_ZN2at6native12_GLOBAL__N_143distribution_elementwise_grid_stride_kernelIfLi4EZNS0_9templates4cuda20normal_and_transformIN3c104HalfEfPNS_17CUDAGeneratorImplEZZZNS4_13normal_kernelIS9_EEvRKNS_10TensorBaseEddT_ENKUlvE_clEvENKUlvE1_clEvEUlfE_EEvRNS_18TensorIteratorBaseET1_T2_EUlP25hiprandStatePhilox4_32_10E_ZNS1_27distribution_nullary_kernelIS7_f15HIP_vector_typeIdLj2EES9_SO_SH_EEvSJ_SL_RKT3_T4_EUlifE0_EEvlNS_15PhiloxCudaStateESK_SL_ ; -- Begin function _ZN2at6native12_GLOBAL__N_143distribution_elementwise_grid_stride_kernelIfLi4EZNS0_9templates4cuda20normal_and_transformIN3c104HalfEfPNS_17CUDAGeneratorImplEZZZNS4_13normal_kernelIS9_EEvRKNS_10TensorBaseEddT_ENKUlvE_clEvENKUlvE1_clEvEUlfE_EEvRNS_18TensorIteratorBaseET1_T2_EUlP25hiprandStatePhilox4_32_10E_ZNS1_27distribution_nullary_kernelIS7_f15HIP_vector_typeIdLj2EES9_SO_SH_EEvSJ_SL_RKT3_T4_EUlifE0_EEvlNS_15PhiloxCudaStateESK_SL_
	.p2align	8
	.type	_ZN2at6native12_GLOBAL__N_143distribution_elementwise_grid_stride_kernelIfLi4EZNS0_9templates4cuda20normal_and_transformIN3c104HalfEfPNS_17CUDAGeneratorImplEZZZNS4_13normal_kernelIS9_EEvRKNS_10TensorBaseEddT_ENKUlvE_clEvENKUlvE1_clEvEUlfE_EEvRNS_18TensorIteratorBaseET1_T2_EUlP25hiprandStatePhilox4_32_10E_ZNS1_27distribution_nullary_kernelIS7_f15HIP_vector_typeIdLj2EES9_SO_SH_EEvSJ_SL_RKT3_T4_EUlifE0_EEvlNS_15PhiloxCudaStateESK_SL_,@function
_ZN2at6native12_GLOBAL__N_143distribution_elementwise_grid_stride_kernelIfLi4EZNS0_9templates4cuda20normal_and_transformIN3c104HalfEfPNS_17CUDAGeneratorImplEZZZNS4_13normal_kernelIS9_EEvRKNS_10TensorBaseEddT_ENKUlvE_clEvENKUlvE1_clEvEUlfE_EEvRNS_18TensorIteratorBaseET1_T2_EUlP25hiprandStatePhilox4_32_10E_ZNS1_27distribution_nullary_kernelIS7_f15HIP_vector_typeIdLj2EES9_SO_SH_EEvSJ_SL_RKT3_T4_EUlifE0_EEvlNS_15PhiloxCudaStateESK_SL_: ; @_ZN2at6native12_GLOBAL__N_143distribution_elementwise_grid_stride_kernelIfLi4EZNS0_9templates4cuda20normal_and_transformIN3c104HalfEfPNS_17CUDAGeneratorImplEZZZNS4_13normal_kernelIS9_EEvRKNS_10TensorBaseEddT_ENKUlvE_clEvENKUlvE1_clEvEUlfE_EEvRNS_18TensorIteratorBaseET1_T2_EUlP25hiprandStatePhilox4_32_10E_ZNS1_27distribution_nullary_kernelIS7_f15HIP_vector_typeIdLj2EES9_SO_SH_EEvSJ_SL_RKT3_T4_EUlifE0_EEvlNS_15PhiloxCudaStateESK_SL_
; %bb.0:
	s_load_dword s2, s[4:5], 0x20
	s_load_dwordx2 s[0:1], s[4:5], 0x10
	s_load_dwordx4 s[24:27], s[4:5], 0x0
	s_waitcnt lgkmcnt(0)
	s_bitcmp0_b32 s2, 0
	s_mov_b32 s2, 0
	v_pk_mov_b32 v[2:3], s[0:1], s[0:1] op_sel:[0,1]
	v_pk_mov_b32 v[12:13], s[26:27], s[26:27] op_sel:[0,1]
	s_cbranch_scc1 .LBB9_2
; %bb.1:
	v_pk_mov_b32 v[2:3], s[0:1], s[0:1] op_sel:[0,1]
	flat_load_dwordx2 v[2:3], v[2:3]
	v_pk_mov_b32 v[4:5], s[26:27], s[26:27] op_sel:[0,1]
	flat_load_dwordx2 v[12:13], v[4:5]
	s_load_dwordx2 s[0:1], s[4:5], 0x18
	s_waitcnt lgkmcnt(0)
	v_mov_b32_e32 v1, s1
	s_waitcnt vmcnt(0)
	v_add_co_u32_e32 v2, vcc, s0, v2
	v_addc_co_u32_e32 v3, vcc, v3, v1, vcc
.LBB9_2:
	s_load_dword s0, s[4:5], 0x154
	s_load_dword s7, s[4:5], 0x148
	s_waitcnt lgkmcnt(0)
	s_and_b32 s8, s0, 0xffff
	s_add_u32 s9, s24, -1
	s_mul_i32 s33, s7, s8
	s_addc_u32 s3, s25, -1
	s_lshl_b32 s82, s33, 2
	s_cmp_lg_u64 s[2:3], 0
	s_mov_b64 s[0:1], -1
	s_cbranch_scc0 .LBB9_51
; %bb.3:
	v_cvt_f32_u32_e32 v1, s82
	v_cvt_f32_ubyte0_e32 v4, 0
	s_sub_u32 s2, 0, s82
	s_subb_u32 s10, 0, 0
	v_madmk_f32 v1, v4, 0x4f800000, v1
	v_rcp_f32_e32 v1, v1
	v_mul_f32_e32 v1, 0x5f7ffffc, v1
	v_mul_f32_e32 v4, 0x2f800000, v1
	v_trunc_f32_e32 v4, v4
	v_madmk_f32 v1, v4, 0xcf800000, v1
	v_cvt_u32_f32_e32 v4, v4
	v_cvt_u32_f32_e32 v1, v1
	v_readfirstlane_b32 s11, v4
	v_readfirstlane_b32 s12, v1
	s_mul_i32 s13, s2, s11
	s_mul_hi_u32 s15, s2, s12
	s_mul_i32 s14, s10, s12
	s_add_i32 s13, s15, s13
	s_add_i32 s13, s13, s14
	s_mul_i32 s16, s2, s12
	s_mul_hi_u32 s14, s12, s13
	s_mul_i32 s15, s12, s13
	s_mul_hi_u32 s12, s12, s16
	s_add_u32 s12, s12, s15
	s_addc_u32 s14, 0, s14
	s_mul_hi_u32 s17, s11, s16
	s_mul_i32 s16, s11, s16
	s_add_u32 s12, s12, s16
	s_mul_hi_u32 s15, s11, s13
	s_addc_u32 s12, s14, s17
	s_addc_u32 s14, s15, 0
	s_mul_i32 s13, s11, s13
	s_add_u32 s12, s12, s13
	s_addc_u32 s13, 0, s14
	v_add_co_u32_e32 v1, vcc, s12, v1
	s_cmp_lg_u64 vcc, 0
	s_addc_u32 s11, s11, s13
	v_readfirstlane_b32 s13, v1
	s_mul_i32 s12, s2, s11
	s_mul_hi_u32 s14, s2, s13
	s_add_i32 s12, s14, s12
	s_mul_i32 s10, s10, s13
	s_add_i32 s12, s12, s10
	s_mul_i32 s2, s2, s13
	s_mul_hi_u32 s14, s11, s2
	s_mul_i32 s15, s11, s2
	s_mul_i32 s17, s13, s12
	s_mul_hi_u32 s2, s13, s2
	s_mul_hi_u32 s16, s13, s12
	s_add_u32 s2, s2, s17
	s_addc_u32 s13, 0, s16
	s_add_u32 s2, s2, s15
	s_mul_hi_u32 s10, s11, s12
	s_addc_u32 s2, s13, s14
	s_addc_u32 s10, s10, 0
	s_mul_i32 s12, s11, s12
	s_add_u32 s2, s2, s12
	s_addc_u32 s10, 0, s10
	v_add_co_u32_e32 v1, vcc, s2, v1
	s_cmp_lg_u64 vcc, 0
	s_addc_u32 s12, s11, s10
	s_ashr_i32 s10, s3, 31
	s_add_u32 s2, s9, s10
	s_mov_b32 s11, s10
	s_addc_u32 s3, s3, s10
	s_xor_b64 s[2:3], s[2:3], s[10:11]
	v_readfirstlane_b32 s15, v1
	s_mul_i32 s14, s2, s12
	s_mul_hi_u32 s16, s2, s15
	s_mul_hi_u32 s13, s2, s12
	s_add_u32 s14, s16, s14
	s_addc_u32 s13, 0, s13
	s_mul_hi_u32 s17, s3, s15
	s_mul_i32 s15, s3, s15
	s_add_u32 s14, s14, s15
	s_mul_hi_u32 s16, s3, s12
	s_addc_u32 s13, s13, s17
	s_addc_u32 s14, s16, 0
	s_mul_i32 s12, s3, s12
	s_add_u32 s12, s13, s12
	s_addc_u32 s13, 0, s14
	s_add_u32 s14, s12, 1
	s_addc_u32 s15, s13, 0
	s_add_u32 s16, s12, 2
	s_mul_i32 s18, s82, s13
	s_mul_hi_u32 s19, s82, s12
	s_addc_u32 s17, s13, 0
	s_add_i32 s19, s19, s18
	s_mul_i32 s18, s82, s12
	v_mov_b32_e32 v1, s18
	v_sub_co_u32_e32 v1, vcc, s2, v1
	s_cmp_lg_u64 vcc, 0
	s_subb_u32 s2, s3, s19
	v_subrev_co_u32_e32 v4, vcc, s82, v1
	s_cmp_lg_u64 vcc, 0
	s_subb_u32 s3, s2, 0
	v_readfirstlane_b32 s18, v4
	s_cmp_ge_u32 s18, s82
	s_cselect_b32 s18, -1, 0
	s_cmp_eq_u32 s3, 0
	s_cselect_b32 s3, s18, -1
	s_cmp_lg_u32 s3, 0
	s_cselect_b32 s3, s17, s15
	v_readfirstlane_b32 s15, v1
	s_cselect_b32 s14, s16, s14
	s_cmp_ge_u32 s15, s82
	s_cselect_b32 s15, -1, 0
	s_cmp_eq_u32 s2, 0
	s_cselect_b32 s2, s15, -1
	s_cmp_lg_u32 s2, 0
	s_cselect_b32 s3, s3, s13
	s_cselect_b32 s2, s14, s12
	s_xor_b64 s[2:3], s[2:3], s[10:11]
	s_sub_u32 s2, s2, s10
	s_subb_u32 s3, s3, s10
	s_cbranch_execnz .LBB9_5
.LBB9_4:
	v_cvt_f32_u32_e32 v1, s82
	s_sub_i32 s0, 0, s82
	s_mov_b32 s3, 0
	v_rcp_iflag_f32_e32 v1, v1
	v_mul_f32_e32 v1, 0x4f7ffffe, v1
	v_cvt_u32_f32_e32 v1, v1
	v_readfirstlane_b32 s1, v1
	s_mul_i32 s0, s0, s1
	s_mul_hi_u32 s0, s1, s0
	s_add_i32 s1, s1, s0
	s_mul_hi_u32 s0, s9, s1
	s_mul_i32 s2, s0, s82
	s_sub_i32 s2, s9, s2
	s_add_i32 s1, s0, 1
	s_sub_i32 s9, s2, s82
	s_cmp_ge_u32 s2, s82
	s_cselect_b32 s0, s1, s0
	s_cselect_b32 s2, s9, s2
	s_add_i32 s1, s0, 1
	s_cmp_ge_u32 s2, s82
	s_cselect_b32 s2, s1, s0
.LBB9_5:
	v_mov_b32_e32 v1, 0
	v_mov_b32_e32 v4, s6
	v_mad_u64_u32 v[14:15], s[0:1], s8, v4, v[0:1]
	s_add_u32 s0, s2, 1
	s_addc_u32 s1, s3, 0
	s_mul_hi_u32 s2, s7, s8
	s_mul_i32 s1, s33, s1
	s_mul_hi_u32 s3, s33, s0
	s_add_i32 s1, s3, s1
	s_mul_i32 s2, s2, s0
	s_add_i32 s1, s1, s2
	s_mul_i32 s0, s33, s0
	s_lshl_b64 s[26:27], s[0:1], 2
	v_cmp_gt_i64_e32 vcc, s[26:27], v[14:15]
	s_and_saveexec_b64 s[0:1], vcc
	s_cbranch_execz .LBB9_50
; %bb.6:
	s_mov_b32 s0, 0x5384540f
	v_mov_b32_e32 v0, v13
	v_add_co_u32_e32 v60, vcc, s0, v12
	s_mov_b32 s0, 0x646e171e
	v_add_co_u32_e32 v61, vcc, s0, v0
	s_mov_b32 s0, 0x1715609d
	;; [unrolled: 2-line block ×6, first 2 shown]
	v_alignbit_b32 v67, v3, v2, 2
	s_mov_b32 s84, 0xd2511f53
	v_add_co_u32_e32 v66, vcc, s0, v12
	v_mad_u64_u32 v[4:5], s[0:1], v67, s84, 0
	v_and_b32_e32 v56, 3, v2
	v_xor_b32_e32 v2, v5, v13
	v_xor_b32_e32 v2, v2, v15
	s_mov_b32 s85, 0xcd9e8d57
	v_mad_u64_u32 v[6:7], s[0:1], v2, s85, 0
	v_xor_b32_e32 v2, v66, v7
	v_mad_u64_u32 v[8:9], s[0:1], v14, s85, 0
	v_xor_b32_e32 v2, v2, v8
	;; [unrolled: 2-line block ×3, first 2 shown]
	v_lshrrev_b32_e32 v68, 2, v3
	v_xor_b32_e32 v2, v2, v68
	v_xor_b32_e32 v5, v65, v11
	v_mad_u64_u32 v[2:3], s[0:1], v2, s84, 0
	v_xor_b32_e32 v2, v5, v2
	v_mad_u64_u32 v[8:9], s[0:1], v2, s85, 0
	s_mov_b32 s0, 0xbb67ae85
	v_add_co_u32_e32 v69, vcc, s0, v0
	v_xor_b32_e32 v2, v69, v3
	v_xor_b32_e32 v2, v2, v4
	v_xor_b32_e32 v5, v64, v9
	v_mad_u64_u32 v[2:3], s[0:1], v2, s85, 0
	v_xor_b32_e32 v2, v5, v2
	v_mad_u64_u32 v[4:5], s[0:1], v2, s84, 0
	s_mov_b32 s0, 0x3c6ef372
	v_add_co_u32_e32 v70, vcc, s0, v12
	v_xor_b32_e32 v2, v70, v3
	;; [unrolled: 8-line block ×6, first 2 shown]
	v_add_co_u32_e32 v59, vcc, 0xdb3d7428, v0
	v_xor_b32_e32 v2, v2, v6
	v_xor_b32_e32 v5, v59, v5
	v_mad_u64_u32 v[2:3], s[0:1], v2, s84, 0
	v_xor_b32_e32 v2, v5, v2
	v_mad_u64_u32 v[16:17], s[0:1], v2, s85, 0
	s_mov_b32 s0, 0x1fd5c5a3
	v_add_co_u32_e32 v75, vcc, s0, v0
	v_xor_b32_e32 v0, v75, v3
	v_xor_b32_e32 v0, v0, v10
	v_mad_u64_u32 v[2:3], s[0:1], v0, s85, 0
	s_mov_b32 s0, 0xf1bbcdc8
	s_load_dwordx8 s[8:15], s[4:5], 0x30
	v_add_u32_e32 v57, 0x8ff34781, v12
	v_xor_b32_e32 v0, v17, v2
	v_add_co_u32_e32 v76, vcc, s0, v12
	v_xor_b32_e32 v6, v57, v0
	v_xor_b32_e32 v0, v76, v3
	;; [unrolled: 1-line block ×3, first 2 shown]
	s_add_u32 s34, s4, 48
	v_mad_u64_u32 v[2:3], s[0:1], v0, s84, 0
	s_addc_u32 s35, s5, 0
	s_waitcnt lgkmcnt(0)
	s_add_i32 s0, s8, -1
	s_cmp_gt_u32 s0, 1
	s_cselect_b64 s[44:45], -1, 0
	s_cmp_lg_u32 s8, 0
	s_cselect_b64 s[46:47], -1, 0
	s_add_u32 s48, s4, 0xf4
	s_addc_u32 s49, s5, 0
	s_min_u32 s1, s0, 15
	s_cmp_gt_u32 s8, 1
	s_cselect_b64 s[50:51], -1, 0
	s_add_i32 s1, s1, 1
	s_mov_b32 s8, s13
	s_load_dwordx2 s[52:53], s[4:5], 0xf4
	s_load_dwordx4 s[28:31], s[4:5], 0x138
	s_and_b32 s13, s1, 3
	s_cmp_lg_u32 s0, 2
	s_cselect_b64 s[54:55], -1, 0
	s_and_b32 s15, s1, 28
	v_add_u32_e32 v58, 0x96a522ad, v13
	v_xor_b32_e32 v0, v3, v4
	s_cmp_lg_u32 s13, 0
	s_mov_b32 s60, 0x55555555
	s_mov_b32 s62, 0xbf559e2b
	s_mov_b32 s64, 0xfefa39ef
	s_mov_b32 s66, 0x3b39803f
	s_mov_b32 s68, 0
	s_mov_b32 s70, 0
	s_mov_b32 s72, 0xf99eb0bb
	s_mov_b32 s74, 0x54442d18
	s_mov_b32 s76, 0x2e21c33
	s_mov_b32 s83, 0
	v_xor_b32_e32 v8, v58, v0
	v_mov_b32_e32 v7, v16
	v_mov_b32_e32 v9, v2
	s_mov_b64 s[56:57], 0
	s_cselect_b64 s[58:59], -1, 0
	s_mov_b32 s61, 0x3fe55555
	s_mov_b32 s63, 0x3fc3ab76
	;; [unrolled: 1-line block ×5, first 2 shown]
	s_brev_b32 s71, 8
	s_mov_b32 s73, 0x3f3e357e
	s_mov_b32 s75, 0x400921fb
	;; [unrolled: 1-line block ×3, first 2 shown]
	v_mov_b32_e32 v16, 0x6b47b09a
	v_mov_b32_e32 v17, 0x3fc38538
	;; [unrolled: 1-line block ×41, first 2 shown]
	s_branch .LBB9_9
.LBB9_7:                                ;   in Loop: Header=BB9_9 Depth=1
	v_xor_b32_e32 v5, 0x80000000, v9
	v_and_b32_e32 v0, 0x80000000, v0
	v_cndmask_b32_e64 v5, v5, v11, s[2:3]
	v_cndmask_b32_e64 v8, v8, v10, s[2:3]
	v_xor_b32_e32 v0, v5, v0
	v_cndmask_b32_e64 v9, v81, v0, s[0:1]
	v_cndmask_b32_e64 v8, 0, v8, s[0:1]
	v_mul_f64 v[6:7], v[6:7], v[8:9]
	v_cvt_f32_f64_e32 v0, v[6:7]
	s_waitcnt lgkmcnt(0)
	v_mov_b32_e32 v5, s30
	v_fma_mixlo_f16 v0, s31, v0, v5
	global_store_short v54, v0, s[28:29]
.LBB9_8:                                ;   in Loop: Header=BB9_9 Depth=1
	s_or_b64 exec, exec, s[40:41]
	v_add_co_u32_e32 v14, vcc, s82, v14
	v_mov_b32_e32 v5, v50
	v_addc_co_u32_e32 v15, vcc, 0, v15, vcc
	v_cmp_le_i64_e32 vcc, s[26:27], v[14:15]
	v_pk_mov_b32 v[8:9], v[4:5], v[4:5] op_sel:[0,1]
	s_or_b64 s[56:57], vcc, s[56:57]
	v_pk_mov_b32 v[6:7], v[2:3], v[2:3] op_sel:[0,1]
	s_waitcnt lgkmcnt(0)
	s_barrier
	s_andn2_b64 exec, exec, s[56:57]
	s_cbranch_execz .LBB9_50
.LBB9_9:                                ; =>This Loop Header: Depth=1
                                        ;     Child Loop BB9_24 Depth 2
                                        ;     Child Loop BB9_30 Depth 2
	;; [unrolled: 1-line block ×4, first 2 shown]
	v_add_co_u32_e32 v67, vcc, 1, v67
	v_cndmask_b32_e64 v0, 0, 1, vcc
	v_addc_co_u32_e32 v68, vcc, 0, v68, vcc
	v_cmp_eq_u32_e32 vcc, 0, v68
	v_cndmask_b32_e32 v0, 0, v0, vcc
	v_add_u32_e32 v82, v0, v82
	v_cmp_eq_u32_e32 vcc, 0, v82
	v_cndmask_b32_e32 v0, 0, v0, vcc
	v_mad_u64_u32 v[2:3], s[0:1], v67, s84, 0
	v_mad_u64_u32 v[4:5], s[0:1], v82, s85, 0
	v_add_u32_e32 v83, v0, v83
	v_xor_b32_e32 v0, v5, v12
	v_xor_b32_e32 v3, v3, v13
	v_xor_b32_e32 v0, v68, v0
	v_xor_b32_e32 v3, v83, v3
	v_mad_u64_u32 v[10:11], s[0:1], v0, s84, 0
	v_mad_u64_u32 v[50:51], s[0:1], v3, s85, 0
	v_xor_b32_e32 v0, v66, v51
	v_xor_b32_e32 v3, v69, v11
	v_xor_b32_e32 v0, v0, v4
	v_xor_b32_e32 v4, v3, v2
	v_mad_u64_u32 v[2:3], s[0:1], v0, s84, 0
	v_mad_u64_u32 v[4:5], s[0:1], v4, s85, 0
	;; [unrolled: 6-line block ×9, first 2 shown]
	v_xor_b32_e32 v0, v11, v2
	v_xor_b32_e32 v2, v57, v0
	;; [unrolled: 1-line block ×4, first 2 shown]
	v_mov_b32_e32 v3, v10
	v_mov_b32_e32 v4, v11
	v_cmp_lt_i32_e32 vcc, 1, v56
	s_and_saveexec_b64 s[0:1], vcc
	s_xor_b64 s[0:1], exec, s[0:1]
	s_cbranch_execz .LBB9_15
; %bb.10:                               ;   in Loop: Header=BB9_9 Depth=1
	v_cmp_lt_i32_e32 vcc, 2, v56
	s_and_saveexec_b64 s[2:3], vcc
	s_xor_b64 s[2:3], exec, s[2:3]
; %bb.11:                               ;   in Loop: Header=BB9_9 Depth=1
	v_mov_b32_e32 v8, v9
	v_mov_b32_e32 v9, v2
	v_pk_mov_b32 v[6:7], v[8:9], v[8:9] op_sel:[0,1]
	v_pk_mov_b32 v[8:9], v[10:11], v[10:11] op_sel:[0,1]
                                        ; implicit-def: $vgpr10_vgpr11
; %bb.12:                               ;   in Loop: Header=BB9_9 Depth=1
	s_andn2_saveexec_b64 s[2:3], s[2:3]
; %bb.13:                               ;   in Loop: Header=BB9_9 Depth=1
	v_mov_b32_e32 v6, v8
	v_mov_b32_e32 v7, v9
	;; [unrolled: 1-line block ×4, first 2 shown]
; %bb.14:                               ;   in Loop: Header=BB9_9 Depth=1
	s_or_b64 exec, exec, s[2:3]
.LBB9_15:                               ;   in Loop: Header=BB9_9 Depth=1
	s_andn2_saveexec_b64 s[0:1], s[0:1]
	s_cbranch_execz .LBB9_19
; %bb.16:                               ;   in Loop: Header=BB9_9 Depth=1
	v_cmp_eq_u32_e32 vcc, 1, v56
	s_and_saveexec_b64 s[2:3], vcc
; %bb.17:                               ;   in Loop: Header=BB9_9 Depth=1
	v_mov_b32_e32 v6, v7
	v_mov_b32_e32 v7, v8
	;; [unrolled: 1-line block ×4, first 2 shown]
; %bb.18:                               ;   in Loop: Header=BB9_9 Depth=1
	s_or_b64 exec, exec, s[2:3]
.LBB9_19:                               ;   in Loop: Header=BB9_9 Depth=1
	s_or_b64 exec, exec, s[0:1]
	v_mov_b32_e32 v0, v7
	v_lshlrev_b64 v[10:11], 21, v[0:1]
	v_xor_b32_e32 v0, v10, v6
	v_cvt_f64_u32_e32 v[6:7], v11
	v_ldexp_f64 v[6:7], v[6:7], 32
	v_cvt_f64_u32_e32 v[10:11], v0
	v_add_f64 v[6:7], v[6:7], v[10:11]
	v_mov_b32_e32 v10, 0
	v_mov_b32_e32 v11, 0x3ca00000
	v_fmac_f64_e32 v[10:11], 0x3ca00000, v[6:7]
	v_frexp_mant_f64_e32 v[52:53], v[10:11]
	v_cmp_gt_f64_e32 vcc, s[60:61], v[52:53]
	v_cndmask_b32_e64 v55, v78, 2.0, vcc
	v_mov_b32_e32 v54, v1
	v_mul_f64 v[52:53], v[52:53], v[54:55]
	v_add_f64 v[54:55], v[52:53], 1.0
	v_rcp_f64_e32 v[84:85], v[54:55]
	v_add_f64 v[88:89], v[54:55], -1.0
	v_add_f64 v[86:87], v[52:53], -1.0
	v_add_f64 v[52:53], v[52:53], -v[88:89]
	v_fma_f64 v[88:89], -v[54:55], v[84:85], 1.0
	v_fmac_f64_e32 v[84:85], v[88:89], v[84:85]
	v_fma_f64 v[88:89], -v[54:55], v[84:85], 1.0
	v_fmac_f64_e32 v[84:85], v[88:89], v[84:85]
	v_mul_f64 v[88:89], v[86:87], v[84:85]
	v_mul_f64 v[90:91], v[54:55], v[88:89]
	v_fma_f64 v[54:55], v[88:89], v[54:55], -v[90:91]
	v_fmac_f64_e32 v[54:55], v[88:89], v[52:53]
	v_add_f64 v[52:53], v[90:91], v[54:55]
	v_add_f64 v[92:93], v[86:87], -v[52:53]
	v_add_f64 v[90:91], v[52:53], -v[90:91]
	;; [unrolled: 1-line block ×5, first 2 shown]
	v_add_f64 v[52:53], v[54:55], v[52:53]
	v_add_f64 v[52:53], v[92:93], v[52:53]
	v_mul_f64 v[52:53], v[84:85], v[52:53]
	v_add_f64 v[54:55], v[88:89], v[52:53]
	v_add_f64 v[84:85], v[54:55], -v[88:89]
	v_add_f64 v[52:53], v[52:53], -v[84:85]
	v_mul_f64 v[84:85], v[54:55], v[54:55]
	v_pk_mov_b32 v[86:87], v[16:17], v[16:17] op_sel:[0,1]
	v_fmac_f64_e32 v[86:87], s[62:63], v[84:85]
	v_pk_mov_b32 v[88:89], v[18:19], v[18:19] op_sel:[0,1]
	v_fmac_f64_e32 v[88:89], v[84:85], v[86:87]
	v_pk_mov_b32 v[86:87], v[20:21], v[20:21] op_sel:[0,1]
	v_fmac_f64_e32 v[86:87], v[84:85], v[88:89]
	v_pk_mov_b32 v[88:89], v[22:23], v[22:23] op_sel:[0,1]
	v_fmac_f64_e32 v[88:89], v[84:85], v[86:87]
	v_pk_mov_b32 v[86:87], v[24:25], v[24:25] op_sel:[0,1]
	v_fmac_f64_e32 v[86:87], v[84:85], v[88:89]
	v_pk_mov_b32 v[88:89], v[26:27], v[26:27] op_sel:[0,1]
	v_fmac_f64_e32 v[88:89], v[84:85], v[86:87]
	v_ldexp_f64 v[86:87], v[54:55], 1
	v_mul_f64 v[54:55], v[54:55], v[84:85]
	v_mul_f64 v[54:55], v[54:55], v[88:89]
	v_add_f64 v[84:85], v[86:87], v[54:55]
	v_mov_b32_e32 v0, v9
	v_add_f64 v[86:87], v[84:85], -v[86:87]
	v_lshlrev_b64 v[6:7], 21, v[0:1]
	v_ldexp_f64 v[52:53], v[52:53], 1
	v_add_f64 v[54:55], v[54:55], -v[86:87]
	v_xor_b32_e32 v0, v6, v8
	v_add_f64 v[52:53], v[52:53], v[54:55]
	v_cvt_f64_u32_e32 v[8:9], v0
	v_frexp_exp_i32_f64_e32 v0, v[10:11]
	v_add_f64 v[54:55], v[84:85], v[52:53]
	v_subbrev_co_u32_e32 v0, vcc, 0, v0, vcc
	v_add_f64 v[84:85], v[54:55], -v[84:85]
	v_add_f64 v[52:53], v[52:53], -v[84:85]
	v_cvt_f64_i32_e32 v[84:85], v0
	v_mul_f64 v[86:87], v[84:85], s[64:65]
	v_fma_f64 v[88:89], v[84:85], s[64:65], -v[86:87]
	v_fmac_f64_e32 v[88:89], s[66:67], v[84:85]
	v_add_f64 v[84:85], v[86:87], v[88:89]
	v_add_f64 v[86:87], v[84:85], -v[86:87]
	v_add_f64 v[86:87], v[88:89], -v[86:87]
	v_add_f64 v[88:89], v[84:85], v[54:55]
	v_add_f64 v[90:91], v[88:89], -v[84:85]
	v_add_f64 v[92:93], v[88:89], -v[90:91]
	;; [unrolled: 1-line block ×4, first 2 shown]
	v_add_f64 v[54:55], v[54:55], v[84:85]
	v_add_f64 v[84:85], v[86:87], v[52:53]
	v_add_f64 v[90:91], v[84:85], -v[86:87]
	v_add_f64 v[92:93], v[84:85], -v[90:91]
	v_add_f64 v[54:55], v[84:85], v[54:55]
	v_add_f64 v[86:87], v[86:87], -v[92:93]
	v_add_f64 v[52:53], v[52:53], -v[90:91]
	v_add_f64 v[84:85], v[88:89], v[54:55]
	v_add_f64 v[52:53], v[52:53], v[86:87]
	v_add_f64 v[86:87], v[84:85], -v[88:89]
	v_add_f64 v[54:55], v[54:55], -v[86:87]
	v_add_f64 v[52:53], v[52:53], v[54:55]
	v_add_f64 v[52:53], v[84:85], v[52:53]
	v_cmp_eq_f64_e32 vcc, s[68:69], v[10:11]
	v_cndmask_b32_e32 v53, v53, v11, vcc
	v_cndmask_b32_e32 v52, v52, v10, vcc
	v_mul_f64 v[52:53], v[52:53], -2.0
	v_cmp_neq_f64_e32 vcc, 0, v[10:11]
	v_cndmask_b32_e32 v11, v79, v53, vcc
	v_cndmask_b32_e32 v10, 0, v52, vcc
	v_cmp_gt_f64_e32 vcc, s[70:71], v[10:11]
	v_cndmask_b32_e64 v0, 0, 1, vcc
	v_lshlrev_b32_e32 v0, 8, v0
	v_ldexp_f64 v[10:11], v[10:11], v0
	v_rsq_f64_e32 v[54:55], v[10:11]
	v_cvt_f64_u32_e32 v[6:7], v7
	v_ldexp_f64 v[6:7], v[6:7], 32
	v_mov_b32_e32 v52, 0
	v_add_f64 v[6:7], v[6:7], v[8:9]
	v_mov_b32_e32 v53, 0x3cb00000
	v_fmac_f64_e32 v[52:53], 0x3cb00000, v[6:7]
	v_mul_f64 v[6:7], v[10:11], v[54:55]
	v_mul_f64 v[8:9], v[54:55], 0.5
	v_fma_f64 v[54:55], -v[8:9], v[6:7], 0.5
	v_fmac_f64_e32 v[6:7], v[6:7], v[54:55]
	v_fma_f64 v[84:85], -v[6:7], v[6:7], v[10:11]
	v_fmac_f64_e32 v[8:9], v[8:9], v[54:55]
	v_fmac_f64_e32 v[6:7], v[84:85], v[8:9]
	v_fma_f64 v[54:55], -v[6:7], v[6:7], v[10:11]
	v_fmac_f64_e32 v[6:7], v[54:55], v[8:9]
	v_cndmask_b32_e32 v0, 0, v80, vcc
	v_ldexp_f64 v[6:7], v[6:7], v0
	v_cmp_class_f64_e32 vcc, v[10:11], v77
	v_mul_f64 v[8:9], v[52:53], 0.5
	v_cndmask_b32_e32 v7, v7, v11, vcc
	v_cndmask_b32_e32 v6, v6, v10, vcc
	v_fract_f64_e32 v[10:11], v[8:9]
	v_add_f64 v[10:11], v[10:11], v[10:11]
	v_cmp_neq_f64_e32 vcc, s[68:69], v[8:9]
	v_cndmask_b32_e32 v0, 0, v10, vcc
	v_cndmask_b32_e32 v5, 0, v11, vcc
	v_cmp_lt_f64_e32 vcc, 1.0, v[52:53]
	v_cndmask_b32_e32 v11, v53, v5, vcc
	v_cndmask_b32_e32 v10, v52, v0, vcc
	v_add_f64 v[8:9], v[10:11], v[10:11]
	v_rndne_f64_e32 v[8:9], v[8:9]
	v_fmac_f64_e32 v[10:11], -0.5, v[8:9]
	v_cvt_i32_f64_e32 v5, v[8:9]
	v_mul_f64 v[54:55], v[10:11], v[10:11]
	v_pk_mov_b32 v[8:9], v[28:29], v[28:29] op_sel:[0,1]
	v_fmac_f64_e32 v[8:9], s[72:73], v[54:55]
	v_pk_mov_b32 v[84:85], v[30:31], v[30:31] op_sel:[0,1]
	v_fmac_f64_e32 v[84:85], v[54:55], v[8:9]
	;; [unrolled: 2-line block ×5, first 2 shown]
	v_mul_f64 v[84:85], v[10:11], v[54:55]
	v_mul_f64 v[8:9], v[84:85], v[8:9]
	v_fmac_f64_e32 v[8:9], s[74:75], v[10:11]
	v_pk_mov_b32 v[10:11], v[38:39], v[38:39] op_sel:[0,1]
	v_fmac_f64_e32 v[10:11], s[76:77], v[54:55]
	v_pk_mov_b32 v[84:85], v[40:41], v[40:41] op_sel:[0,1]
	;; [unrolled: 2-line block ×6, first 2 shown]
	v_lshlrev_b32_e32 v0, 30, v5
	v_and_b32_e32 v5, 1, v5
	v_fmac_f64_e32 v[84:85], v[54:55], v[10:11]
	v_cmp_eq_u32_e64 s[2:3], 0, v5
	v_cndmask_b32_e64 v5, 0, 1, s[44:45]
	v_fma_f64 v[10:11], v[54:55], v[84:85], 1.0
	v_cmp_lg_f64_e64 s[0:1], s[68:69], v[52:53]
	v_cmp_gt_i64_e32 vcc, s[24:25], v[14:15]
	v_cmp_ne_u32_e64 s[4:5], 1, v5
	s_and_saveexec_b64 s[6:7], vcc
	s_cbranch_execz .LBB9_35
; %bb.20:                               ;   in Loop: Header=BB9_9 Depth=1
	s_and_b64 vcc, exec, s[4:5]
	s_cbranch_vccnz .LBB9_26
; %bb.21:                               ;   in Loop: Header=BB9_9 Depth=1
	s_andn2_b64 vcc, exec, s[46:47]
	s_cbranch_vccnz .LBB9_27
; %bb.22:                               ;   in Loop: Header=BB9_9 Depth=1
	s_mov_b32 s18, 0
	s_andn2_b64 vcc, exec, s[54:55]
	v_mov_b32_e32 v54, 0
	s_cbranch_vccnz .LBB9_28
; %bb.23:                               ;   in Loop: Header=BB9_9 Depth=1
	s_mov_b32 s86, 0
	v_mov_b32_e32 v54, 0
	s_mov_b64 s[78:79], s[34:35]
	s_mov_b64 s[80:81], s[48:49]
	v_mov_b32_e32 v5, v14
.LBB9_24:                               ;   Parent Loop BB9_9 Depth=1
                                        ; =>  This Inner Loop Header: Depth=2
	s_load_dwordx8 s[16:23], s[78:79], 0x4
	s_load_dwordx4 s[36:39], s[78:79], 0x24
	s_load_dwordx4 s[40:43], s[80:81], 0x0
	s_add_u32 s78, s78, 48
	s_addc_u32 s79, s79, 0
	s_waitcnt lgkmcnt(0)
	v_mul_hi_u32 v51, s17, v5
	v_add_u32_e32 v51, v5, v51
	v_lshrrev_b32_e32 v51, s18, v51
	v_mul_lo_u32 v52, v51, s16
	v_mul_hi_u32 v55, s20, v51
	v_sub_u32_e32 v5, v5, v52
	v_add_u32_e32 v52, v51, v55
	v_lshrrev_b32_e32 v52, s21, v52
	v_mul_lo_u32 v55, v52, s19
	v_mul_hi_u32 v84, s23, v52
	v_sub_u32_e32 v51, v51, v55
	v_add_u32_e32 v55, v52, v84
	v_mul_lo_u32 v5, v5, s40
	v_mul_lo_u32 v51, v51, s41
	v_lshrrev_b32_e32 v55, s36, v55
	v_add3_u32 v51, v5, v54, v51
	v_mul_lo_u32 v5, v55, s22
	v_mul_hi_u32 v54, s38, v55
	v_sub_u32_e32 v5, v52, v5
	v_add_u32_e32 v52, v55, v54
	v_mul_lo_u32 v54, v5, s42
	v_lshrrev_b32_e32 v5, s39, v52
	s_add_i32 s86, s86, 4
	v_mul_lo_u32 v52, v5, s37
	s_add_u32 s80, s80, 16
	v_sub_u32_e32 v52, v55, v52
	s_addc_u32 s81, s81, 0
	v_mul_lo_u32 v52, v52, s43
	s_cmp_lg_u32 s15, s86
	v_add3_u32 v54, v54, v51, v52
	s_cbranch_scc1 .LBB9_24
; %bb.25:                               ;   in Loop: Header=BB9_9 Depth=1
	s_mov_b32 s18, s15
	s_andn2_b64 vcc, exec, s[58:59]
	s_cbranch_vccz .LBB9_29
	s_branch .LBB9_31
.LBB9_26:                               ;   in Loop: Header=BB9_9 Depth=1
                                        ; implicit-def: $vgpr54
	s_branch .LBB9_32
.LBB9_27:                               ;   in Loop: Header=BB9_9 Depth=1
	v_mov_b32_e32 v54, 0
	s_branch .LBB9_31
.LBB9_28:                               ;   in Loop: Header=BB9_9 Depth=1
	v_mov_b32_e32 v5, v14
	s_andn2_b64 vcc, exec, s[58:59]
	s_cbranch_vccnz .LBB9_31
.LBB9_29:                               ;   in Loop: Header=BB9_9 Depth=1
	s_lshl_b32 s16, s18, 2
	s_add_u32 s16, s48, s16
	s_addc_u32 s17, s49, 0
	s_mul_i32 s18, s18, 12
	s_add_u32 s18, s34, s18
	s_addc_u32 s19, s35, 0
	s_mov_b32 s20, s13
.LBB9_30:                               ;   Parent Loop BB9_9 Depth=1
                                        ; =>  This Inner Loop Header: Depth=2
	s_load_dwordx2 s[22:23], s[18:19], 0x4
	s_load_dword s21, s[18:19], 0xc
	s_load_dword s36, s[16:17], 0x0
	s_add_u32 s18, s18, 12
	s_addc_u32 s19, s19, 0
	s_waitcnt lgkmcnt(0)
	v_mul_hi_u32 v51, s23, v5
	v_add_u32_e32 v51, v5, v51
	v_lshrrev_b32_e32 v51, s21, v51
	s_add_u32 s16, s16, 4
	v_mul_lo_u32 v52, v51, s22
	s_addc_u32 s17, s17, 0
	s_add_i32 s20, s20, -1
	v_sub_u32_e32 v52, v5, v52
	s_cmp_lg_u32 s20, 0
	v_mov_b32_e32 v5, v51
	v_mad_u64_u32 v[54:55], s[22:23], v52, s36, v[54:55]
	s_cbranch_scc1 .LBB9_30
.LBB9_31:                               ;   in Loop: Header=BB9_9 Depth=1
	s_cbranch_execnz .LBB9_34
.LBB9_32:                               ;   in Loop: Header=BB9_9 Depth=1
	v_mul_hi_u32 v5, v14, s10
	v_add_u32_e32 v5, v5, v14
	v_lshrrev_b32_e32 v5, s11, v5
	v_mul_lo_u32 v51, v5, s9
	v_sub_u32_e32 v51, v14, v51
	s_andn2_b64 vcc, exec, s[50:51]
	s_waitcnt lgkmcnt(0)
	v_mul_lo_u32 v54, v51, s52
	s_cbranch_vccnz .LBB9_34
; %bb.33:                               ;   in Loop: Header=BB9_9 Depth=1
	v_mul_hi_u32 v51, s8, v5
	v_add_u32_e32 v51, v5, v51
	v_lshrrev_b32_e32 v51, s14, v51
	v_mul_lo_u32 v51, v51, s12
	v_sub_u32_e32 v5, v5, v51
	v_mad_u64_u32 v[54:55], s[16:17], v5, s53, v[54:55]
.LBB9_34:                               ;   in Loop: Header=BB9_9 Depth=1
	v_xor_b32_e32 v52, v0, v53
	v_cndmask_b32_e64 v51, v11, v9, s[2:3]
	v_and_b32_e32 v52, 0x80000000, v52
	v_cndmask_b32_e64 v5, v10, v8, s[2:3]
	v_xor_b32_e32 v51, v51, v52
	v_cndmask_b32_e64 v52, 0, v5, s[0:1]
	v_cndmask_b32_e64 v53, v81, v51, s[0:1]
	v_mul_f64 v[52:53], v[6:7], v[52:53]
	v_cvt_f32_f64_e32 v5, v[52:53]
	s_waitcnt lgkmcnt(0)
	v_mov_b32_e32 v51, s30
	v_fma_mixlo_f16 v5, s31, v5, v51
	global_store_short v54, v5, s[28:29]
.LBB9_35:                               ;   in Loop: Header=BB9_9 Depth=1
	s_or_b64 exec, exec, s[6:7]
	v_mov_b32_e32 v5, s83
	v_add_co_u32_e32 v52, vcc, s33, v14
	v_addc_co_u32_e32 v53, vcc, v15, v5, vcc
	v_cmp_gt_i64_e32 vcc, s[24:25], v[52:53]
	s_and_saveexec_b64 s[40:41], vcc
	s_cbranch_execz .LBB9_8
; %bb.36:                               ;   in Loop: Header=BB9_9 Depth=1
	s_and_b64 vcc, exec, s[4:5]
	s_cbranch_vccnz .LBB9_42
; %bb.37:                               ;   in Loop: Header=BB9_9 Depth=1
	s_andn2_b64 vcc, exec, s[46:47]
	s_cbranch_vccnz .LBB9_43
; %bb.38:                               ;   in Loop: Header=BB9_9 Depth=1
	s_mov_b32 s6, 0
	s_andn2_b64 vcc, exec, s[54:55]
	v_mov_b32_e32 v54, 0
	s_cbranch_vccnz .LBB9_44
; %bb.39:                               ;   in Loop: Header=BB9_9 Depth=1
	s_mov_b32 s80, 0
	v_mov_b32_e32 v54, 0
	s_mov_b64 s[42:43], s[34:35]
	s_mov_b64 s[78:79], s[48:49]
	v_mov_b32_e32 v5, v52
.LBB9_40:                               ;   Parent Loop BB9_9 Depth=1
                                        ; =>  This Inner Loop Header: Depth=2
	s_load_dwordx8 s[16:23], s[42:43], 0x4
	s_load_dwordx4 s[4:7], s[42:43], 0x24
	s_load_dwordx4 s[36:39], s[78:79], 0x0
	s_add_u32 s42, s42, 48
	s_addc_u32 s43, s43, 0
	s_waitcnt lgkmcnt(0)
	v_mul_hi_u32 v51, s17, v5
	v_add_u32_e32 v51, v5, v51
	v_lshrrev_b32_e32 v51, s18, v51
	v_mul_lo_u32 v53, v51, s16
	v_mul_hi_u32 v55, s20, v51
	v_sub_u32_e32 v5, v5, v53
	v_add_u32_e32 v53, v51, v55
	v_lshrrev_b32_e32 v53, s21, v53
	v_mul_lo_u32 v55, v53, s19
	v_mul_hi_u32 v84, s23, v53
	v_sub_u32_e32 v51, v51, v55
	v_add_u32_e32 v55, v53, v84
	v_mul_lo_u32 v5, v5, s36
	v_mul_lo_u32 v51, v51, s37
	v_lshrrev_b32_e32 v55, s4, v55
	v_add3_u32 v51, v5, v54, v51
	v_mul_lo_u32 v5, v55, s22
	v_mul_hi_u32 v54, s6, v55
	v_sub_u32_e32 v5, v53, v5
	v_add_u32_e32 v53, v55, v54
	v_mul_lo_u32 v54, v5, s38
	v_lshrrev_b32_e32 v5, s7, v53
	s_add_i32 s80, s80, 4
	v_mul_lo_u32 v53, v5, s5
	s_add_u32 s78, s78, 16
	v_sub_u32_e32 v53, v55, v53
	s_addc_u32 s79, s79, 0
	v_mul_lo_u32 v53, v53, s39
	s_cmp_eq_u32 s15, s80
	v_add3_u32 v54, v54, v51, v53
	s_cbranch_scc0 .LBB9_40
; %bb.41:                               ;   in Loop: Header=BB9_9 Depth=1
	s_mov_b32 s6, s15
	s_andn2_b64 vcc, exec, s[58:59]
	s_cbranch_vccz .LBB9_45
	s_branch .LBB9_47
.LBB9_42:                               ;   in Loop: Header=BB9_9 Depth=1
                                        ; implicit-def: $vgpr54
	s_branch .LBB9_48
.LBB9_43:                               ;   in Loop: Header=BB9_9 Depth=1
	v_mov_b32_e32 v54, 0
	s_branch .LBB9_47
.LBB9_44:                               ;   in Loop: Header=BB9_9 Depth=1
	v_mov_b32_e32 v5, v52
	s_andn2_b64 vcc, exec, s[58:59]
	s_cbranch_vccnz .LBB9_47
.LBB9_45:                               ;   in Loop: Header=BB9_9 Depth=1
	s_lshl_b32 s4, s6, 2
	s_add_u32 s4, s48, s4
	s_addc_u32 s5, s49, 0
	s_mul_i32 s6, s6, 12
	s_add_u32 s6, s34, s6
	s_addc_u32 s7, s35, 0
	s_mov_b32 s16, s13
.LBB9_46:                               ;   Parent Loop BB9_9 Depth=1
                                        ; =>  This Inner Loop Header: Depth=2
	s_load_dwordx2 s[18:19], s[6:7], 0x4
	s_load_dword s17, s[6:7], 0xc
	s_load_dword s20, s[4:5], 0x0
	s_add_u32 s6, s6, 12
	s_addc_u32 s7, s7, 0
	s_waitcnt lgkmcnt(0)
	v_mul_hi_u32 v51, s19, v5
	v_add_u32_e32 v51, v5, v51
	v_lshrrev_b32_e32 v51, s17, v51
	s_add_u32 s4, s4, 4
	v_mul_lo_u32 v53, v51, s18
	s_addc_u32 s5, s5, 0
	s_add_i32 s16, s16, -1
	v_sub_u32_e32 v53, v5, v53
	s_cmp_lg_u32 s16, 0
	v_mov_b32_e32 v5, v51
	v_mad_u64_u32 v[54:55], s[18:19], v53, s20, v[54:55]
	s_cbranch_scc1 .LBB9_46
.LBB9_47:                               ;   in Loop: Header=BB9_9 Depth=1
	s_cbranch_execnz .LBB9_7
.LBB9_48:                               ;   in Loop: Header=BB9_9 Depth=1
	v_mul_hi_u32 v5, v52, s10
	v_add_u32_e32 v5, v5, v52
	v_lshrrev_b32_e32 v5, s11, v5
	v_mul_lo_u32 v51, v5, s9
	v_sub_u32_e32 v51, v52, v51
	s_andn2_b64 vcc, exec, s[50:51]
	s_waitcnt lgkmcnt(0)
	v_mul_lo_u32 v54, v51, s52
	s_cbranch_vccnz .LBB9_7
; %bb.49:                               ;   in Loop: Header=BB9_9 Depth=1
	v_mul_hi_u32 v51, s8, v5
	v_add_u32_e32 v51, v5, v51
	v_lshrrev_b32_e32 v51, s14, v51
	v_mul_lo_u32 v51, v51, s12
	v_sub_u32_e32 v5, v5, v51
	v_mad_u64_u32 v[54:55], s[4:5], v5, s53, v[54:55]
	s_branch .LBB9_7
.LBB9_50:
	s_endpgm
.LBB9_51:
                                        ; implicit-def: $sgpr2_sgpr3
	s_andn2_b64 vcc, exec, s[0:1]
	s_cbranch_vccz .LBB9_4
	s_branch .LBB9_5
	.section	.rodata,"a",@progbits
	.p2align	6, 0x0
	.amdhsa_kernel _ZN2at6native12_GLOBAL__N_143distribution_elementwise_grid_stride_kernelIfLi4EZNS0_9templates4cuda20normal_and_transformIN3c104HalfEfPNS_17CUDAGeneratorImplEZZZNS4_13normal_kernelIS9_EEvRKNS_10TensorBaseEddT_ENKUlvE_clEvENKUlvE1_clEvEUlfE_EEvRNS_18TensorIteratorBaseET1_T2_EUlP25hiprandStatePhilox4_32_10E_ZNS1_27distribution_nullary_kernelIS7_f15HIP_vector_typeIdLj2EES9_SO_SH_EEvSJ_SL_RKT3_T4_EUlifE0_EEvlNS_15PhiloxCudaStateESK_SL_
		.amdhsa_group_segment_fixed_size 0
		.amdhsa_private_segment_fixed_size 0
		.amdhsa_kernarg_size 584
		.amdhsa_user_sgpr_count 6
		.amdhsa_user_sgpr_private_segment_buffer 1
		.amdhsa_user_sgpr_dispatch_ptr 0
		.amdhsa_user_sgpr_queue_ptr 0
		.amdhsa_user_sgpr_kernarg_segment_ptr 1
		.amdhsa_user_sgpr_dispatch_id 0
		.amdhsa_user_sgpr_flat_scratch_init 0
		.amdhsa_user_sgpr_kernarg_preload_length 0
		.amdhsa_user_sgpr_kernarg_preload_offset 0
		.amdhsa_user_sgpr_private_segment_size 0
		.amdhsa_uses_dynamic_stack 0
		.amdhsa_system_sgpr_private_segment_wavefront_offset 0
		.amdhsa_system_sgpr_workgroup_id_x 1
		.amdhsa_system_sgpr_workgroup_id_y 0
		.amdhsa_system_sgpr_workgroup_id_z 0
		.amdhsa_system_sgpr_workgroup_info 0
		.amdhsa_system_vgpr_workitem_id 0
		.amdhsa_next_free_vgpr 94
		.amdhsa_next_free_sgpr 87
		.amdhsa_accum_offset 96
		.amdhsa_reserve_vcc 1
		.amdhsa_reserve_flat_scratch 0
		.amdhsa_float_round_mode_32 0
		.amdhsa_float_round_mode_16_64 0
		.amdhsa_float_denorm_mode_32 3
		.amdhsa_float_denorm_mode_16_64 3
		.amdhsa_dx10_clamp 1
		.amdhsa_ieee_mode 1
		.amdhsa_fp16_overflow 0
		.amdhsa_tg_split 0
		.amdhsa_exception_fp_ieee_invalid_op 0
		.amdhsa_exception_fp_denorm_src 0
		.amdhsa_exception_fp_ieee_div_zero 0
		.amdhsa_exception_fp_ieee_overflow 0
		.amdhsa_exception_fp_ieee_underflow 0
		.amdhsa_exception_fp_ieee_inexact 0
		.amdhsa_exception_int_div_zero 0
	.end_amdhsa_kernel
	.section	.text._ZN2at6native12_GLOBAL__N_143distribution_elementwise_grid_stride_kernelIfLi4EZNS0_9templates4cuda20normal_and_transformIN3c104HalfEfPNS_17CUDAGeneratorImplEZZZNS4_13normal_kernelIS9_EEvRKNS_10TensorBaseEddT_ENKUlvE_clEvENKUlvE1_clEvEUlfE_EEvRNS_18TensorIteratorBaseET1_T2_EUlP25hiprandStatePhilox4_32_10E_ZNS1_27distribution_nullary_kernelIS7_f15HIP_vector_typeIdLj2EES9_SO_SH_EEvSJ_SL_RKT3_T4_EUlifE0_EEvlNS_15PhiloxCudaStateESK_SL_,"axG",@progbits,_ZN2at6native12_GLOBAL__N_143distribution_elementwise_grid_stride_kernelIfLi4EZNS0_9templates4cuda20normal_and_transformIN3c104HalfEfPNS_17CUDAGeneratorImplEZZZNS4_13normal_kernelIS9_EEvRKNS_10TensorBaseEddT_ENKUlvE_clEvENKUlvE1_clEvEUlfE_EEvRNS_18TensorIteratorBaseET1_T2_EUlP25hiprandStatePhilox4_32_10E_ZNS1_27distribution_nullary_kernelIS7_f15HIP_vector_typeIdLj2EES9_SO_SH_EEvSJ_SL_RKT3_T4_EUlifE0_EEvlNS_15PhiloxCudaStateESK_SL_,comdat
.Lfunc_end9:
	.size	_ZN2at6native12_GLOBAL__N_143distribution_elementwise_grid_stride_kernelIfLi4EZNS0_9templates4cuda20normal_and_transformIN3c104HalfEfPNS_17CUDAGeneratorImplEZZZNS4_13normal_kernelIS9_EEvRKNS_10TensorBaseEddT_ENKUlvE_clEvENKUlvE1_clEvEUlfE_EEvRNS_18TensorIteratorBaseET1_T2_EUlP25hiprandStatePhilox4_32_10E_ZNS1_27distribution_nullary_kernelIS7_f15HIP_vector_typeIdLj2EES9_SO_SH_EEvSJ_SL_RKT3_T4_EUlifE0_EEvlNS_15PhiloxCudaStateESK_SL_, .Lfunc_end9-_ZN2at6native12_GLOBAL__N_143distribution_elementwise_grid_stride_kernelIfLi4EZNS0_9templates4cuda20normal_and_transformIN3c104HalfEfPNS_17CUDAGeneratorImplEZZZNS4_13normal_kernelIS9_EEvRKNS_10TensorBaseEddT_ENKUlvE_clEvENKUlvE1_clEvEUlfE_EEvRNS_18TensorIteratorBaseET1_T2_EUlP25hiprandStatePhilox4_32_10E_ZNS1_27distribution_nullary_kernelIS7_f15HIP_vector_typeIdLj2EES9_SO_SH_EEvSJ_SL_RKT3_T4_EUlifE0_EEvlNS_15PhiloxCudaStateESK_SL_
                                        ; -- End function
	.section	.AMDGPU.csdata,"",@progbits
; Kernel info:
; codeLenInByte = 4884
; NumSgprs: 91
; NumVgprs: 94
; NumAgprs: 0
; TotalNumVgprs: 94
; ScratchSize: 0
; MemoryBound: 0
; FloatMode: 240
; IeeeMode: 1
; LDSByteSize: 0 bytes/workgroup (compile time only)
; SGPRBlocks: 11
; VGPRBlocks: 11
; NumSGPRsForWavesPerEU: 91
; NumVGPRsForWavesPerEU: 94
; AccumOffset: 96
; Occupancy: 5
; WaveLimiterHint : 1
; COMPUTE_PGM_RSRC2:SCRATCH_EN: 0
; COMPUTE_PGM_RSRC2:USER_SGPR: 6
; COMPUTE_PGM_RSRC2:TRAP_HANDLER: 0
; COMPUTE_PGM_RSRC2:TGID_X_EN: 1
; COMPUTE_PGM_RSRC2:TGID_Y_EN: 0
; COMPUTE_PGM_RSRC2:TGID_Z_EN: 0
; COMPUTE_PGM_RSRC2:TIDIG_COMP_CNT: 0
; COMPUTE_PGM_RSRC3_GFX90A:ACCUM_OFFSET: 23
; COMPUTE_PGM_RSRC3_GFX90A:TG_SPLIT: 0
	.section	.text._ZN2at6native12_GLOBAL__N_143distribution_elementwise_grid_stride_kernelIfLi4EZNS0_9templates4cuda20normal_and_transformIN3c104HalfEfPNS_17CUDAGeneratorImplEZZZNS4_13normal_kernelIS9_EEvRKNS_10TensorBaseEddT_ENKUlvE_clEvENKUlvE1_clEvEUlfE_EEvRNS_18TensorIteratorBaseET1_T2_EUlP25hiprandStatePhilox4_32_10E0_ZNS1_27distribution_nullary_kernelIS7_f15HIP_vector_typeIfLj4EES9_SO_SH_EEvSJ_SL_RKT3_T4_EUlifE_EEvlNS_15PhiloxCudaStateESK_SL_,"axG",@progbits,_ZN2at6native12_GLOBAL__N_143distribution_elementwise_grid_stride_kernelIfLi4EZNS0_9templates4cuda20normal_and_transformIN3c104HalfEfPNS_17CUDAGeneratorImplEZZZNS4_13normal_kernelIS9_EEvRKNS_10TensorBaseEddT_ENKUlvE_clEvENKUlvE1_clEvEUlfE_EEvRNS_18TensorIteratorBaseET1_T2_EUlP25hiprandStatePhilox4_32_10E0_ZNS1_27distribution_nullary_kernelIS7_f15HIP_vector_typeIfLj4EES9_SO_SH_EEvSJ_SL_RKT3_T4_EUlifE_EEvlNS_15PhiloxCudaStateESK_SL_,comdat
	.globl	_ZN2at6native12_GLOBAL__N_143distribution_elementwise_grid_stride_kernelIfLi4EZNS0_9templates4cuda20normal_and_transformIN3c104HalfEfPNS_17CUDAGeneratorImplEZZZNS4_13normal_kernelIS9_EEvRKNS_10TensorBaseEddT_ENKUlvE_clEvENKUlvE1_clEvEUlfE_EEvRNS_18TensorIteratorBaseET1_T2_EUlP25hiprandStatePhilox4_32_10E0_ZNS1_27distribution_nullary_kernelIS7_f15HIP_vector_typeIfLj4EES9_SO_SH_EEvSJ_SL_RKT3_T4_EUlifE_EEvlNS_15PhiloxCudaStateESK_SL_ ; -- Begin function _ZN2at6native12_GLOBAL__N_143distribution_elementwise_grid_stride_kernelIfLi4EZNS0_9templates4cuda20normal_and_transformIN3c104HalfEfPNS_17CUDAGeneratorImplEZZZNS4_13normal_kernelIS9_EEvRKNS_10TensorBaseEddT_ENKUlvE_clEvENKUlvE1_clEvEUlfE_EEvRNS_18TensorIteratorBaseET1_T2_EUlP25hiprandStatePhilox4_32_10E0_ZNS1_27distribution_nullary_kernelIS7_f15HIP_vector_typeIfLj4EES9_SO_SH_EEvSJ_SL_RKT3_T4_EUlifE_EEvlNS_15PhiloxCudaStateESK_SL_
	.p2align	8
	.type	_ZN2at6native12_GLOBAL__N_143distribution_elementwise_grid_stride_kernelIfLi4EZNS0_9templates4cuda20normal_and_transformIN3c104HalfEfPNS_17CUDAGeneratorImplEZZZNS4_13normal_kernelIS9_EEvRKNS_10TensorBaseEddT_ENKUlvE_clEvENKUlvE1_clEvEUlfE_EEvRNS_18TensorIteratorBaseET1_T2_EUlP25hiprandStatePhilox4_32_10E0_ZNS1_27distribution_nullary_kernelIS7_f15HIP_vector_typeIfLj4EES9_SO_SH_EEvSJ_SL_RKT3_T4_EUlifE_EEvlNS_15PhiloxCudaStateESK_SL_,@function
_ZN2at6native12_GLOBAL__N_143distribution_elementwise_grid_stride_kernelIfLi4EZNS0_9templates4cuda20normal_and_transformIN3c104HalfEfPNS_17CUDAGeneratorImplEZZZNS4_13normal_kernelIS9_EEvRKNS_10TensorBaseEddT_ENKUlvE_clEvENKUlvE1_clEvEUlfE_EEvRNS_18TensorIteratorBaseET1_T2_EUlP25hiprandStatePhilox4_32_10E0_ZNS1_27distribution_nullary_kernelIS7_f15HIP_vector_typeIfLj4EES9_SO_SH_EEvSJ_SL_RKT3_T4_EUlifE_EEvlNS_15PhiloxCudaStateESK_SL_: ; @_ZN2at6native12_GLOBAL__N_143distribution_elementwise_grid_stride_kernelIfLi4EZNS0_9templates4cuda20normal_and_transformIN3c104HalfEfPNS_17CUDAGeneratorImplEZZZNS4_13normal_kernelIS9_EEvRKNS_10TensorBaseEddT_ENKUlvE_clEvENKUlvE1_clEvEUlfE_EEvRNS_18TensorIteratorBaseET1_T2_EUlP25hiprandStatePhilox4_32_10E0_ZNS1_27distribution_nullary_kernelIS7_f15HIP_vector_typeIfLj4EES9_SO_SH_EEvSJ_SL_RKT3_T4_EUlifE_EEvlNS_15PhiloxCudaStateESK_SL_
; %bb.0:
	s_load_dword s2, s[4:5], 0x20
	s_load_dwordx2 s[0:1], s[4:5], 0x10
	s_load_dwordx4 s[8:11], s[4:5], 0x0
	s_waitcnt lgkmcnt(0)
	s_bitcmp0_b32 s2, 0
	s_mov_b32 s2, 0
	v_pk_mov_b32 v[2:3], s[0:1], s[0:1] op_sel:[0,1]
	v_pk_mov_b32 v[14:15], s[10:11], s[10:11] op_sel:[0,1]
	s_cbranch_scc1 .LBB10_2
; %bb.1:
	v_pk_mov_b32 v[2:3], s[0:1], s[0:1] op_sel:[0,1]
	flat_load_dwordx2 v[2:3], v[2:3]
	v_pk_mov_b32 v[4:5], s[10:11], s[10:11] op_sel:[0,1]
	flat_load_dwordx2 v[14:15], v[4:5]
	s_load_dwordx2 s[0:1], s[4:5], 0x18
	s_waitcnt lgkmcnt(0)
	v_mov_b32_e32 v1, s1
	s_waitcnt vmcnt(0)
	v_add_co_u32_e32 v2, vcc, s0, v2
	v_addc_co_u32_e32 v3, vcc, v3, v1, vcc
.LBB10_2:
	s_load_dword s0, s[4:5], 0x54
	s_load_dword s25, s[4:5], 0x48
	s_waitcnt lgkmcnt(0)
	s_and_b32 s7, s0, 0xffff
	s_add_u32 s10, s8, -1
	s_mul_i32 s16, s25, s7
	s_addc_u32 s3, s9, -1
	s_lshl_b32 s17, s16, 2
	s_cmp_lg_u64 s[2:3], 0
	s_mov_b64 s[0:1], -1
	s_cbranch_scc0 .LBB10_27
; %bb.3:
	v_cvt_f32_u32_e32 v1, s17
	v_cvt_f32_ubyte0_e32 v4, 0
	s_sub_u32 s2, 0, s17
	s_subb_u32 s11, 0, 0
	v_madmk_f32 v1, v4, 0x4f800000, v1
	v_rcp_f32_e32 v1, v1
	v_mul_f32_e32 v1, 0x5f7ffffc, v1
	v_mul_f32_e32 v4, 0x2f800000, v1
	v_trunc_f32_e32 v4, v4
	v_madmk_f32 v1, v4, 0xcf800000, v1
	v_cvt_u32_f32_e32 v4, v4
	v_cvt_u32_f32_e32 v1, v1
	v_readfirstlane_b32 s12, v4
	v_readfirstlane_b32 s13, v1
	s_mul_i32 s14, s2, s12
	s_mul_hi_u32 s18, s2, s13
	s_mul_i32 s15, s11, s13
	s_add_i32 s14, s18, s14
	s_add_i32 s14, s14, s15
	s_mul_i32 s19, s2, s13
	s_mul_hi_u32 s15, s13, s14
	s_mul_i32 s18, s13, s14
	s_mul_hi_u32 s13, s13, s19
	s_add_u32 s13, s13, s18
	s_addc_u32 s15, 0, s15
	s_mul_hi_u32 s20, s12, s19
	s_mul_i32 s19, s12, s19
	s_add_u32 s13, s13, s19
	s_mul_hi_u32 s18, s12, s14
	s_addc_u32 s13, s15, s20
	s_addc_u32 s15, s18, 0
	s_mul_i32 s14, s12, s14
	s_add_u32 s13, s13, s14
	s_addc_u32 s14, 0, s15
	v_add_co_u32_e32 v1, vcc, s13, v1
	s_cmp_lg_u64 vcc, 0
	s_addc_u32 s12, s12, s14
	v_readfirstlane_b32 s14, v1
	s_mul_i32 s13, s2, s12
	s_mul_hi_u32 s15, s2, s14
	s_add_i32 s13, s15, s13
	s_mul_i32 s11, s11, s14
	s_add_i32 s13, s13, s11
	s_mul_i32 s2, s2, s14
	s_mul_hi_u32 s15, s12, s2
	s_mul_i32 s18, s12, s2
	s_mul_i32 s20, s14, s13
	s_mul_hi_u32 s2, s14, s2
	s_mul_hi_u32 s19, s14, s13
	s_add_u32 s2, s2, s20
	s_addc_u32 s14, 0, s19
	s_add_u32 s2, s2, s18
	s_mul_hi_u32 s11, s12, s13
	s_addc_u32 s2, s14, s15
	s_addc_u32 s11, s11, 0
	s_mul_i32 s13, s12, s13
	s_add_u32 s2, s2, s13
	s_addc_u32 s11, 0, s11
	v_add_co_u32_e32 v1, vcc, s2, v1
	s_cmp_lg_u64 vcc, 0
	s_addc_u32 s11, s12, s11
	s_ashr_i32 s12, s3, 31
	s_add_u32 s2, s10, s12
	s_mov_b32 s13, s12
	s_addc_u32 s3, s3, s12
	s_xor_b64 s[2:3], s[2:3], s[12:13]
	v_readfirstlane_b32 s18, v1
	s_mul_i32 s15, s2, s11
	s_mul_hi_u32 s19, s2, s18
	s_mul_hi_u32 s14, s2, s11
	s_add_u32 s15, s19, s15
	s_addc_u32 s14, 0, s14
	s_mul_hi_u32 s20, s3, s18
	s_mul_i32 s18, s3, s18
	s_add_u32 s15, s15, s18
	s_mul_hi_u32 s19, s3, s11
	s_addc_u32 s14, s14, s20
	s_addc_u32 s15, s19, 0
	s_mul_i32 s11, s3, s11
	s_add_u32 s11, s14, s11
	s_addc_u32 s14, 0, s15
	s_add_u32 s15, s11, 1
	s_addc_u32 s18, s14, 0
	s_add_u32 s19, s11, 2
	s_mul_i32 s21, s17, s14
	s_mul_hi_u32 s22, s17, s11
	s_addc_u32 s20, s14, 0
	s_add_i32 s22, s22, s21
	s_mul_i32 s21, s17, s11
	v_mov_b32_e32 v1, s21
	v_sub_co_u32_e32 v1, vcc, s2, v1
	s_cmp_lg_u64 vcc, 0
	s_subb_u32 s2, s3, s22
	v_subrev_co_u32_e32 v4, vcc, s17, v1
	s_cmp_lg_u64 vcc, 0
	s_subb_u32 s3, s2, 0
	v_readfirstlane_b32 s21, v4
	s_cmp_ge_u32 s21, s17
	s_cselect_b32 s21, -1, 0
	s_cmp_eq_u32 s3, 0
	s_cselect_b32 s3, s21, -1
	s_cmp_lg_u32 s3, 0
	s_cselect_b32 s3, s20, s18
	v_readfirstlane_b32 s18, v1
	s_cselect_b32 s15, s19, s15
	s_cmp_ge_u32 s18, s17
	s_cselect_b32 s18, -1, 0
	s_cmp_eq_u32 s2, 0
	s_cselect_b32 s2, s18, -1
	s_cmp_lg_u32 s2, 0
	s_cselect_b32 s3, s3, s14
	s_cselect_b32 s2, s15, s11
	s_xor_b64 s[2:3], s[2:3], s[12:13]
	s_sub_u32 s2, s2, s12
	s_subb_u32 s3, s3, s12
	s_cbranch_execnz .LBB10_5
.LBB10_4:
	v_cvt_f32_u32_e32 v1, s17
	s_sub_i32 s0, 0, s17
	s_mov_b32 s3, 0
	v_rcp_iflag_f32_e32 v1, v1
	v_mul_f32_e32 v1, 0x4f7ffffe, v1
	v_cvt_u32_f32_e32 v1, v1
	v_readfirstlane_b32 s1, v1
	s_mul_i32 s0, s0, s1
	s_mul_hi_u32 s0, s1, s0
	s_add_i32 s1, s1, s0
	s_mul_hi_u32 s0, s10, s1
	s_mul_i32 s2, s0, s17
	s_sub_i32 s2, s10, s2
	s_add_i32 s1, s0, 1
	s_sub_i32 s10, s2, s17
	s_cmp_ge_u32 s2, s17
	s_cselect_b32 s0, s1, s0
	s_cselect_b32 s2, s10, s2
	s_add_i32 s1, s0, 1
	s_cmp_ge_u32 s2, s17
	s_cselect_b32 s2, s1, s0
.LBB10_5:
	v_mov_b32_e32 v1, 0
	v_mov_b32_e32 v4, s6
	v_mad_u64_u32 v[16:17], s[0:1], s7, v4, v[0:1]
	s_add_u32 s0, s2, 1
	s_addc_u32 s1, s3, 0
	s_mul_hi_u32 s2, s25, s7
	s_mul_i32 s1, s16, s1
	s_mul_hi_u32 s3, s16, s0
	s_add_i32 s1, s3, s1
	s_mul_i32 s2, s2, s0
	s_add_i32 s1, s1, s2
	s_mul_i32 s0, s16, s0
	s_lshl_b64 s[2:3], s[0:1], 2
	v_cmp_gt_i64_e32 vcc, s[2:3], v[16:17]
	s_and_saveexec_b64 s[0:1], vcc
	s_cbranch_execz .LBB10_26
; %bb.6:
	s_mov_b32 s0, 0x5384540f
	v_mov_b32_e32 v4, v15
	v_add_co_u32_e32 v22, vcc, s0, v14
	s_mov_b32 s0, 0x646e171e
	v_add_co_u32_e32 v23, vcc, s0, v4
	s_mov_b32 s0, 0x1715609d
	;; [unrolled: 2-line block ×6, first 2 shown]
	v_alignbit_b32 v29, v3, v2, 2
	s_mov_b32 s18, 0xd2511f53
	v_add_co_u32_e32 v28, vcc, s0, v14
	v_mad_u64_u32 v[6:7], s[0:1], v29, s18, 0
	v_xor_b32_e32 v1, v7, v15
	v_xor_b32_e32 v1, v1, v17
	s_mov_b32 s19, 0xcd9e8d57
	v_mad_u64_u32 v[8:9], s[0:1], v1, s19, 0
	v_xor_b32_e32 v1, v28, v9
	v_mad_u64_u32 v[10:11], s[0:1], v16, s19, 0
	v_and_b32_e32 v18, 3, v2
	v_xor_b32_e32 v1, v1, v10
	v_xor_b32_e32 v2, v14, v11
	v_lshrrev_b32_e32 v30, 2, v3
	v_mad_u64_u32 v[12:13], s[0:1], v1, s18, 0
	v_xor_b32_e32 v2, v2, v30
	v_xor_b32_e32 v1, v27, v13
	v_mad_u64_u32 v[2:3], s[0:1], v2, s18, 0
	v_xor_b32_e32 v1, v1, v2
	v_mad_u64_u32 v[10:11], s[0:1], v1, s19, 0
	s_mov_b32 s0, 0xbb67ae85
	v_add_co_u32_e32 v31, vcc, s0, v4
	v_xor_b32_e32 v2, v31, v3
	v_xor_b32_e32 v2, v2, v6
	v_xor_b32_e32 v1, v26, v11
	v_mad_u64_u32 v[2:3], s[0:1], v2, s19, 0
	v_xor_b32_e32 v1, v1, v2
	v_mad_u64_u32 v[6:7], s[0:1], v1, s18, 0
	s_mov_b32 s0, 0x3c6ef372
	v_add_co_u32_e32 v32, vcc, s0, v14
	v_xor_b32_e32 v2, v32, v3
	;; [unrolled: 8-line block ×6, first 2 shown]
	v_add_co_u32_e32 v21, vcc, 0xdb3d7428, v4
	v_xor_b32_e32 v2, v2, v8
	v_xor_b32_e32 v1, v21, v7
	v_mad_u64_u32 v[2:3], s[0:1], v2, s18, 0
	v_xor_b32_e32 v1, v1, v2
	v_mad_u64_u32 v[8:9], s[0:1], v1, s19, 0
	s_mov_b32 s0, 0x1fd5c5a3
	v_add_co_u32_e32 v37, vcc, s0, v4
	v_xor_b32_e32 v1, v37, v3
	v_xor_b32_e32 v1, v1, v12
	v_mad_u64_u32 v[2:3], s[0:1], v1, s19, 0
	s_mov_b32 s0, 0xf1bbcdc8
	v_add_u32_e32 v19, 0x8ff34781, v14
	v_xor_b32_e32 v1, v9, v2
	v_add_co_u32_e32 v38, vcc, s0, v14
	s_load_dwordx4 s[12:15], s[4:5], 0x38
	s_load_dwordx2 s[10:11], s[4:5], 0x30
	v_xor_b32_e32 v2, v19, v1
	v_xor_b32_e32 v1, v38, v3
	;; [unrolled: 1-line block ×3, first 2 shown]
	v_mad_u64_u32 v[10:11], s[0:1], v1, s18, 0
	v_add_u32_e32 v20, 0x96a522ad, v15
	v_xor_b32_e32 v1, v11, v6
	s_mul_i32 s0, s6, s7
	v_xor_b32_e32 v4, v20, v1
	v_add_u32_e32 v1, s0, v0
	s_waitcnt lgkmcnt(0)
	s_mul_i32 s0, s25, s12
	s_mul_i32 s0, s0, s7
	s_lshl_b32 s24, s0, 2
	s_mul_i32 s0, s25, 3
	s_add_i32 s0, s6, s0
	s_mul_i32 s0, s0, s7
	v_mul_lo_u32 v39, s12, v1
	v_add_u32_e32 v1, s0, v0
	s_lshl_b32 s0, s25, 1
	s_add_i32 s0, s6, s0
	s_mul_i32 s0, s0, s7
	v_mul_lo_u32 v40, s12, v1
	v_add_u32_e32 v1, s0, v0
	s_add_i32 s0, s6, s25
	s_mul_i32 s0, s0, s7
	s_mov_b32 s15, 0
	v_add_u32_e32 v0, s0, v0
	v_mov_b32_e32 v3, v8
	v_mov_b32_e32 v5, v10
	s_lshl_b32 s20, s16, 1
	s_mov_b32 s21, s15
	s_mul_i32 s22, s16, 3
	s_mov_b32 s23, s15
	v_mul_lo_u32 v41, s12, v1
	v_mul_lo_u32 v42, s12, v0
	s_mov_b64 s[4:5], 0
	s_mov_b32 s12, 0x800000
	s_mov_b32 s25, 0x3f317217
	;; [unrolled: 1-line block ×4, first 2 shown]
	v_mov_b32_e32 v43, 0x260
	v_mov_b32_e32 v44, 0x4f800000
	;; [unrolled: 1-line block ×3, first 2 shown]
	s_mov_b32 s28, s15
	v_mov_b32_e32 v46, v16
	v_mov_b32_e32 v47, v17
	s_branch .LBB10_8
.LBB10_7:                               ;   in Loop: Header=BB10_8 Depth=1
	s_or_b64 exec, exec, s[0:1]
	v_add_co_u32_e32 v16, vcc, s17, v16
	v_addc_co_u32_e32 v17, vcc, 0, v17, vcc
	v_mov_b32_e32 v9, v0
	s_add_i32 s28, s28, s24
	v_cmp_le_i64_e32 vcc, s[2:3], v[16:17]
	v_pk_mov_b32 v[2:3], v[6:7], v[6:7] op_sel:[0,1]
	s_or_b64 s[4:5], vcc, s[4:5]
	v_pk_mov_b32 v[4:5], v[8:9], v[8:9] op_sel:[0,1]
	s_barrier
	s_andn2_b64 exec, exec, s[4:5]
	s_cbranch_execz .LBB10_26
.LBB10_8:                               ; =>This Inner Loop Header: Depth=1
	v_add_co_u32_e32 v29, vcc, 1, v29
	v_cndmask_b32_e64 v0, 0, 1, vcc
	v_addc_co_u32_e32 v30, vcc, 0, v30, vcc
	v_cmp_eq_u32_e32 vcc, 0, v30
	v_cndmask_b32_e32 v0, 0, v0, vcc
	v_add_u32_e32 v46, v0, v46
	v_cmp_eq_u32_e32 vcc, 0, v46
	v_cndmask_b32_e32 v0, 0, v0, vcc
	v_add_u32_e32 v47, v0, v47
	v_mad_u64_u32 v[0:1], s[0:1], v29, s18, 0
	v_mad_u64_u32 v[6:7], s[0:1], v46, s19, 0
	v_xor_b32_e32 v1, v1, v15
	v_xor_b32_e32 v7, v7, v14
	v_xor_b32_e32 v1, v47, v1
	v_xor_b32_e32 v7, v30, v7
	v_mad_u64_u32 v[10:11], s[0:1], v1, s19, 0
	v_mad_u64_u32 v[8:9], s[0:1], v7, s18, 0
	v_xor_b32_e32 v1, v28, v11
	v_xor_b32_e32 v1, v1, v6
	v_xor_b32_e32 v6, v31, v9
	v_xor_b32_e32 v6, v6, v0
	;; [unrolled: 6-line block ×10, first 2 shown]
	v_mov_b32_e32 v7, v12
	v_mov_b32_e32 v8, v13
	v_cmp_lt_i32_e32 vcc, 1, v18
	s_and_saveexec_b64 s[0:1], vcc
	s_xor_b64 s[0:1], exec, s[0:1]
	s_cbranch_execz .LBB10_14
; %bb.9:                                ;   in Loop: Header=BB10_8 Depth=1
	v_cmp_lt_i32_e32 vcc, 2, v18
	s_and_saveexec_b64 s[6:7], vcc
	s_xor_b64 s[6:7], exec, s[6:7]
; %bb.10:                               ;   in Loop: Header=BB10_8 Depth=1
	v_mov_b32_e32 v10, v5
	v_mov_b32_e32 v11, v6
	v_pk_mov_b32 v[2:3], v[10:11], v[10:11] op_sel:[0,1]
	v_pk_mov_b32 v[4:5], v[12:13], v[12:13] op_sel:[0,1]
                                        ; implicit-def: $vgpr12_vgpr13
; %bb.11:                               ;   in Loop: Header=BB10_8 Depth=1
	s_andn2_saveexec_b64 s[6:7], s[6:7]
; %bb.12:                               ;   in Loop: Header=BB10_8 Depth=1
	v_mov_b32_e32 v2, v4
	v_mov_b32_e32 v3, v5
	;; [unrolled: 1-line block ×4, first 2 shown]
; %bb.13:                               ;   in Loop: Header=BB10_8 Depth=1
	s_or_b64 exec, exec, s[6:7]
.LBB10_14:                              ;   in Loop: Header=BB10_8 Depth=1
	s_andn2_saveexec_b64 s[0:1], s[0:1]
	s_cbranch_execz .LBB10_18
; %bb.15:                               ;   in Loop: Header=BB10_8 Depth=1
	v_cmp_eq_u32_e32 vcc, 1, v18
	s_and_saveexec_b64 s[6:7], vcc
; %bb.16:                               ;   in Loop: Header=BB10_8 Depth=1
	v_mov_b32_e32 v2, v3
	v_mov_b32_e32 v3, v4
	;; [unrolled: 1-line block ×4, first 2 shown]
; %bb.17:                               ;   in Loop: Header=BB10_8 Depth=1
	s_or_b64 exec, exec, s[6:7]
.LBB10_18:                              ;   in Loop: Header=BB10_8 Depth=1
	s_or_b64 exec, exec, s[0:1]
	v_cvt_f32_u32_e32 v1, v2
	v_mov_b32_e32 v2, 0x2f800000
	v_fmac_f32_e32 v2, 0x2f800000, v1
	v_cmp_gt_f32_e32 vcc, s12, v2
	v_cndmask_b32_e32 v1, 1.0, v44, vcc
	v_mul_f32_e32 v1, v2, v1
	v_log_f32_e32 v1, v1
	v_cvt_f32_u32_e32 v2, v3
	v_cndmask_b32_e32 v3, 0, v45, vcc
	v_mul_f32_e32 v9, 0x3f317217, v1
	v_fma_f32 v10, v1, s25, -v9
	v_fmac_f32_e32 v10, 0x3377d1cf, v1
	v_add_f32_e32 v9, v9, v10
	v_cmp_lt_f32_e64 vcc, |v1|, s26
	v_cndmask_b32_e32 v1, v1, v9, vcc
	v_sub_f32_e32 v1, v1, v3
	v_mul_f32_e32 v1, -2.0, v1
	v_mul_f32_e32 v3, 0x4f800000, v1
	v_cmp_gt_f32_e32 vcc, s27, v1
	v_cndmask_b32_e32 v1, v1, v3, vcc
	v_sqrt_f32_e32 v3, v1
	v_mov_b32_e32 v9, 0x30c90fdb
	v_fmac_f32_e32 v9, 0x30c90fdb, v2
	v_add_u32_e32 v2, -1, v3
	v_fma_f32 v10, -v2, v3, v1
	v_cmp_ge_f32_e64 s[0:1], 0, v10
	v_add_u32_e32 v10, 1, v3
	v_cndmask_b32_e64 v2, v3, v2, s[0:1]
	v_fma_f32 v3, -v10, v3, v1
	v_cmp_lt_f32_e64 s[0:1], 0, v3
	v_cndmask_b32_e64 v2, v2, v10, s[0:1]
	v_mul_f32_e32 v3, 0x37800000, v2
	v_cndmask_b32_e32 v2, v2, v3, vcc
	v_cmp_class_f32_e32 vcc, v1, v43
	v_cndmask_b32_e32 v1, v2, v1, vcc
	v_cmp_gt_i64_e32 vcc, s[8:9], v[16:17]
	v_mul_f32_e32 v2, 0.15915494, v9
	s_and_saveexec_b64 s[0:1], vcc
	s_cbranch_execz .LBB10_20
; %bb.19:                               ;   in Loop: Header=BB10_8 Depth=1
	v_sin_f32_e32 v3, v2
	v_add_u32_e32 v9, s28, v39
	v_mov_b32_e32 v11, s11
	v_ashrrev_i32_e32 v12, 31, v9
	v_mul_f32_e32 v3, v3, v1
	v_add_co_u32_e32 v10, vcc, s10, v9
	v_mov_b32_e32 v9, s13
	v_addc_co_u32_e32 v11, vcc, v11, v12, vcc
	v_fma_mixlo_f16 v3, s14, v3, v9
	global_store_short v[10:11], v3, off
.LBB10_20:                              ;   in Loop: Header=BB10_8 Depth=1
	s_or_b64 exec, exec, s[0:1]
	v_mov_b32_e32 v3, s15
	v_add_co_u32_e32 v10, vcc, s16, v16
	v_addc_co_u32_e32 v11, vcc, v3, v17, vcc
	v_cmp_gt_i64_e32 vcc, s[8:9], v[10:11]
	s_and_saveexec_b64 s[0:1], vcc
	s_cbranch_execz .LBB10_22
; %bb.21:                               ;   in Loop: Header=BB10_8 Depth=1
	v_cos_f32_e32 v2, v2
	v_add_u32_e32 v3, s28, v42
	v_mov_b32_e32 v9, s11
	v_ashrrev_i32_e32 v10, 31, v3
	v_mul_f32_e32 v1, v2, v1
	v_add_co_u32_e32 v2, vcc, s10, v3
	v_addc_co_u32_e32 v3, vcc, v9, v10, vcc
	v_mov_b32_e32 v9, s13
	v_fma_mixlo_f16 v1, s14, v1, v9
	global_store_short v[2:3], v1, off
.LBB10_22:                              ;   in Loop: Header=BB10_8 Depth=1
	s_or_b64 exec, exec, s[0:1]
	v_cvt_f32_u32_e32 v1, v4
	v_mov_b32_e32 v2, 0x2f800000
	v_fmac_f32_e32 v2, 0x2f800000, v1
	v_cmp_gt_f32_e32 vcc, s12, v2
	v_cndmask_b32_e32 v1, 1.0, v44, vcc
	v_mul_f32_e32 v1, v2, v1
	v_log_f32_e32 v1, v1
	v_cvt_f32_u32_e32 v2, v5
	v_cndmask_b32_e32 v3, 0, v45, vcc
	v_mul_f32_e32 v4, 0x3f317217, v1
	v_fma_f32 v5, v1, s25, -v4
	v_fmac_f32_e32 v5, 0x3377d1cf, v1
	v_add_f32_e32 v4, v4, v5
	v_cmp_lt_f32_e64 vcc, |v1|, s26
	v_cndmask_b32_e32 v1, v1, v4, vcc
	v_sub_f32_e32 v1, v1, v3
	v_mul_f32_e32 v1, -2.0, v1
	v_mul_f32_e32 v3, 0x4f800000, v1
	v_cmp_gt_f32_e32 vcc, s27, v1
	v_cndmask_b32_e32 v1, v1, v3, vcc
	v_sqrt_f32_e32 v3, v1
	v_mov_b32_e32 v4, 0x30c90fdb
	v_fmac_f32_e32 v4, 0x30c90fdb, v2
	v_add_u32_e32 v2, -1, v3
	v_fma_f32 v5, -v2, v3, v1
	v_cmp_ge_f32_e64 s[0:1], 0, v5
	v_add_u32_e32 v5, 1, v3
	v_cndmask_b32_e64 v2, v3, v2, s[0:1]
	v_fma_f32 v3, -v5, v3, v1
	v_cmp_lt_f32_e64 s[0:1], 0, v3
	v_cndmask_b32_e64 v2, v2, v5, s[0:1]
	v_mul_f32_e32 v3, 0x37800000, v2
	v_cndmask_b32_e32 v2, v2, v3, vcc
	v_cmp_class_f32_e32 vcc, v1, v43
	v_cndmask_b32_e32 v1, v2, v1, vcc
	v_mov_b32_e32 v3, s21
	v_add_co_u32_e32 v2, vcc, s20, v16
	v_addc_co_u32_e32 v3, vcc, v3, v17, vcc
	v_cmp_gt_i64_e32 vcc, s[8:9], v[2:3]
	v_mul_f32_e32 v2, 0.15915494, v4
	s_and_saveexec_b64 s[0:1], vcc
	s_cbranch_execz .LBB10_24
; %bb.23:                               ;   in Loop: Header=BB10_8 Depth=1
	v_sin_f32_e32 v3, v2
	v_add_u32_e32 v4, s28, v41
	v_mov_b32_e32 v5, s11
	v_ashrrev_i32_e32 v9, 31, v4
	v_add_co_u32_e32 v4, vcc, s10, v4
	v_mul_f32_e32 v3, v3, v1
	v_addc_co_u32_e32 v5, vcc, v5, v9, vcc
	v_mov_b32_e32 v9, s13
	v_fma_mixlo_f16 v3, s14, v3, v9
	global_store_short v[4:5], v3, off
.LBB10_24:                              ;   in Loop: Header=BB10_8 Depth=1
	s_or_b64 exec, exec, s[0:1]
	v_mov_b32_e32 v3, s23
	v_add_co_u32_e32 v4, vcc, s22, v16
	v_addc_co_u32_e32 v5, vcc, v3, v17, vcc
	v_cmp_gt_i64_e32 vcc, s[8:9], v[4:5]
	s_and_saveexec_b64 s[0:1], vcc
	s_cbranch_execz .LBB10_7
; %bb.25:                               ;   in Loop: Header=BB10_8 Depth=1
	v_cos_f32_e32 v2, v2
	v_add_u32_e32 v3, s28, v40
	v_mov_b32_e32 v4, s11
	v_ashrrev_i32_e32 v5, 31, v3
	v_mul_f32_e32 v1, v2, v1
	v_add_co_u32_e32 v2, vcc, s10, v3
	v_addc_co_u32_e32 v3, vcc, v4, v5, vcc
	v_mov_b32_e32 v4, s13
	v_fma_mixlo_f16 v1, s14, v1, v4
	global_store_short v[2:3], v1, off
	s_branch .LBB10_7
.LBB10_26:
	s_endpgm
.LBB10_27:
                                        ; implicit-def: $sgpr2_sgpr3
	s_andn2_b64 vcc, exec, s[0:1]
	s_cbranch_vccz .LBB10_4
	s_branch .LBB10_5
	.section	.rodata,"a",@progbits
	.p2align	6, 0x0
	.amdhsa_kernel _ZN2at6native12_GLOBAL__N_143distribution_elementwise_grid_stride_kernelIfLi4EZNS0_9templates4cuda20normal_and_transformIN3c104HalfEfPNS_17CUDAGeneratorImplEZZZNS4_13normal_kernelIS9_EEvRKNS_10TensorBaseEddT_ENKUlvE_clEvENKUlvE1_clEvEUlfE_EEvRNS_18TensorIteratorBaseET1_T2_EUlP25hiprandStatePhilox4_32_10E0_ZNS1_27distribution_nullary_kernelIS7_f15HIP_vector_typeIfLj4EES9_SO_SH_EEvSJ_SL_RKT3_T4_EUlifE_EEvlNS_15PhiloxCudaStateESK_SL_
		.amdhsa_group_segment_fixed_size 0
		.amdhsa_private_segment_fixed_size 0
		.amdhsa_kernarg_size 328
		.amdhsa_user_sgpr_count 6
		.amdhsa_user_sgpr_private_segment_buffer 1
		.amdhsa_user_sgpr_dispatch_ptr 0
		.amdhsa_user_sgpr_queue_ptr 0
		.amdhsa_user_sgpr_kernarg_segment_ptr 1
		.amdhsa_user_sgpr_dispatch_id 0
		.amdhsa_user_sgpr_flat_scratch_init 0
		.amdhsa_user_sgpr_kernarg_preload_length 0
		.amdhsa_user_sgpr_kernarg_preload_offset 0
		.amdhsa_user_sgpr_private_segment_size 0
		.amdhsa_uses_dynamic_stack 0
		.amdhsa_system_sgpr_private_segment_wavefront_offset 0
		.amdhsa_system_sgpr_workgroup_id_x 1
		.amdhsa_system_sgpr_workgroup_id_y 0
		.amdhsa_system_sgpr_workgroup_id_z 0
		.amdhsa_system_sgpr_workgroup_info 0
		.amdhsa_system_vgpr_workitem_id 0
		.amdhsa_next_free_vgpr 50
		.amdhsa_next_free_sgpr 29
		.amdhsa_accum_offset 52
		.amdhsa_reserve_vcc 1
		.amdhsa_reserve_flat_scratch 0
		.amdhsa_float_round_mode_32 0
		.amdhsa_float_round_mode_16_64 0
		.amdhsa_float_denorm_mode_32 3
		.amdhsa_float_denorm_mode_16_64 3
		.amdhsa_dx10_clamp 1
		.amdhsa_ieee_mode 1
		.amdhsa_fp16_overflow 0
		.amdhsa_tg_split 0
		.amdhsa_exception_fp_ieee_invalid_op 0
		.amdhsa_exception_fp_denorm_src 0
		.amdhsa_exception_fp_ieee_div_zero 0
		.amdhsa_exception_fp_ieee_overflow 0
		.amdhsa_exception_fp_ieee_underflow 0
		.amdhsa_exception_fp_ieee_inexact 0
		.amdhsa_exception_int_div_zero 0
	.end_amdhsa_kernel
	.section	.text._ZN2at6native12_GLOBAL__N_143distribution_elementwise_grid_stride_kernelIfLi4EZNS0_9templates4cuda20normal_and_transformIN3c104HalfEfPNS_17CUDAGeneratorImplEZZZNS4_13normal_kernelIS9_EEvRKNS_10TensorBaseEddT_ENKUlvE_clEvENKUlvE1_clEvEUlfE_EEvRNS_18TensorIteratorBaseET1_T2_EUlP25hiprandStatePhilox4_32_10E0_ZNS1_27distribution_nullary_kernelIS7_f15HIP_vector_typeIfLj4EES9_SO_SH_EEvSJ_SL_RKT3_T4_EUlifE_EEvlNS_15PhiloxCudaStateESK_SL_,"axG",@progbits,_ZN2at6native12_GLOBAL__N_143distribution_elementwise_grid_stride_kernelIfLi4EZNS0_9templates4cuda20normal_and_transformIN3c104HalfEfPNS_17CUDAGeneratorImplEZZZNS4_13normal_kernelIS9_EEvRKNS_10TensorBaseEddT_ENKUlvE_clEvENKUlvE1_clEvEUlfE_EEvRNS_18TensorIteratorBaseET1_T2_EUlP25hiprandStatePhilox4_32_10E0_ZNS1_27distribution_nullary_kernelIS7_f15HIP_vector_typeIfLj4EES9_SO_SH_EEvSJ_SL_RKT3_T4_EUlifE_EEvlNS_15PhiloxCudaStateESK_SL_,comdat
.Lfunc_end10:
	.size	_ZN2at6native12_GLOBAL__N_143distribution_elementwise_grid_stride_kernelIfLi4EZNS0_9templates4cuda20normal_and_transformIN3c104HalfEfPNS_17CUDAGeneratorImplEZZZNS4_13normal_kernelIS9_EEvRKNS_10TensorBaseEddT_ENKUlvE_clEvENKUlvE1_clEvEUlfE_EEvRNS_18TensorIteratorBaseET1_T2_EUlP25hiprandStatePhilox4_32_10E0_ZNS1_27distribution_nullary_kernelIS7_f15HIP_vector_typeIfLj4EES9_SO_SH_EEvSJ_SL_RKT3_T4_EUlifE_EEvlNS_15PhiloxCudaStateESK_SL_, .Lfunc_end10-_ZN2at6native12_GLOBAL__N_143distribution_elementwise_grid_stride_kernelIfLi4EZNS0_9templates4cuda20normal_and_transformIN3c104HalfEfPNS_17CUDAGeneratorImplEZZZNS4_13normal_kernelIS9_EEvRKNS_10TensorBaseEddT_ENKUlvE_clEvENKUlvE1_clEvEUlfE_EEvRNS_18TensorIteratorBaseET1_T2_EUlP25hiprandStatePhilox4_32_10E0_ZNS1_27distribution_nullary_kernelIS7_f15HIP_vector_typeIfLj4EES9_SO_SH_EEvSJ_SL_RKT3_T4_EUlifE_EEvlNS_15PhiloxCudaStateESK_SL_
                                        ; -- End function
	.section	.AMDGPU.csdata,"",@progbits
; Kernel info:
; codeLenInByte = 2860
; NumSgprs: 33
; NumVgprs: 50
; NumAgprs: 0
; TotalNumVgprs: 50
; ScratchSize: 0
; MemoryBound: 0
; FloatMode: 240
; IeeeMode: 1
; LDSByteSize: 0 bytes/workgroup (compile time only)
; SGPRBlocks: 4
; VGPRBlocks: 6
; NumSGPRsForWavesPerEU: 33
; NumVGPRsForWavesPerEU: 50
; AccumOffset: 52
; Occupancy: 8
; WaveLimiterHint : 0
; COMPUTE_PGM_RSRC2:SCRATCH_EN: 0
; COMPUTE_PGM_RSRC2:USER_SGPR: 6
; COMPUTE_PGM_RSRC2:TRAP_HANDLER: 0
; COMPUTE_PGM_RSRC2:TGID_X_EN: 1
; COMPUTE_PGM_RSRC2:TGID_Y_EN: 0
; COMPUTE_PGM_RSRC2:TGID_Z_EN: 0
; COMPUTE_PGM_RSRC2:TIDIG_COMP_CNT: 0
; COMPUTE_PGM_RSRC3_GFX90A:ACCUM_OFFSET: 12
; COMPUTE_PGM_RSRC3_GFX90A:TG_SPLIT: 0
	.section	.text._ZN2at6native12_GLOBAL__N_143distribution_elementwise_grid_stride_kernelIfLi4EZNS0_9templates4cuda20normal_and_transformIN3c104HalfEfPNS_17CUDAGeneratorImplEZZZNS4_13normal_kernelIS9_EEvRKNS_10TensorBaseEddT_ENKUlvE_clEvENKUlvE1_clEvEUlfE_EEvRNS_18TensorIteratorBaseET1_T2_EUlP25hiprandStatePhilox4_32_10E0_ZNS1_27distribution_nullary_kernelIS7_f15HIP_vector_typeIfLj4EES9_SO_SH_EEvSJ_SL_RKT3_T4_EUlifE0_EEvlNS_15PhiloxCudaStateESK_SL_,"axG",@progbits,_ZN2at6native12_GLOBAL__N_143distribution_elementwise_grid_stride_kernelIfLi4EZNS0_9templates4cuda20normal_and_transformIN3c104HalfEfPNS_17CUDAGeneratorImplEZZZNS4_13normal_kernelIS9_EEvRKNS_10TensorBaseEddT_ENKUlvE_clEvENKUlvE1_clEvEUlfE_EEvRNS_18TensorIteratorBaseET1_T2_EUlP25hiprandStatePhilox4_32_10E0_ZNS1_27distribution_nullary_kernelIS7_f15HIP_vector_typeIfLj4EES9_SO_SH_EEvSJ_SL_RKT3_T4_EUlifE0_EEvlNS_15PhiloxCudaStateESK_SL_,comdat
	.globl	_ZN2at6native12_GLOBAL__N_143distribution_elementwise_grid_stride_kernelIfLi4EZNS0_9templates4cuda20normal_and_transformIN3c104HalfEfPNS_17CUDAGeneratorImplEZZZNS4_13normal_kernelIS9_EEvRKNS_10TensorBaseEddT_ENKUlvE_clEvENKUlvE1_clEvEUlfE_EEvRNS_18TensorIteratorBaseET1_T2_EUlP25hiprandStatePhilox4_32_10E0_ZNS1_27distribution_nullary_kernelIS7_f15HIP_vector_typeIfLj4EES9_SO_SH_EEvSJ_SL_RKT3_T4_EUlifE0_EEvlNS_15PhiloxCudaStateESK_SL_ ; -- Begin function _ZN2at6native12_GLOBAL__N_143distribution_elementwise_grid_stride_kernelIfLi4EZNS0_9templates4cuda20normal_and_transformIN3c104HalfEfPNS_17CUDAGeneratorImplEZZZNS4_13normal_kernelIS9_EEvRKNS_10TensorBaseEddT_ENKUlvE_clEvENKUlvE1_clEvEUlfE_EEvRNS_18TensorIteratorBaseET1_T2_EUlP25hiprandStatePhilox4_32_10E0_ZNS1_27distribution_nullary_kernelIS7_f15HIP_vector_typeIfLj4EES9_SO_SH_EEvSJ_SL_RKT3_T4_EUlifE0_EEvlNS_15PhiloxCudaStateESK_SL_
	.p2align	8
	.type	_ZN2at6native12_GLOBAL__N_143distribution_elementwise_grid_stride_kernelIfLi4EZNS0_9templates4cuda20normal_and_transformIN3c104HalfEfPNS_17CUDAGeneratorImplEZZZNS4_13normal_kernelIS9_EEvRKNS_10TensorBaseEddT_ENKUlvE_clEvENKUlvE1_clEvEUlfE_EEvRNS_18TensorIteratorBaseET1_T2_EUlP25hiprandStatePhilox4_32_10E0_ZNS1_27distribution_nullary_kernelIS7_f15HIP_vector_typeIfLj4EES9_SO_SH_EEvSJ_SL_RKT3_T4_EUlifE0_EEvlNS_15PhiloxCudaStateESK_SL_,@function
_ZN2at6native12_GLOBAL__N_143distribution_elementwise_grid_stride_kernelIfLi4EZNS0_9templates4cuda20normal_and_transformIN3c104HalfEfPNS_17CUDAGeneratorImplEZZZNS4_13normal_kernelIS9_EEvRKNS_10TensorBaseEddT_ENKUlvE_clEvENKUlvE1_clEvEUlfE_EEvRNS_18TensorIteratorBaseET1_T2_EUlP25hiprandStatePhilox4_32_10E0_ZNS1_27distribution_nullary_kernelIS7_f15HIP_vector_typeIfLj4EES9_SO_SH_EEvSJ_SL_RKT3_T4_EUlifE0_EEvlNS_15PhiloxCudaStateESK_SL_: ; @_ZN2at6native12_GLOBAL__N_143distribution_elementwise_grid_stride_kernelIfLi4EZNS0_9templates4cuda20normal_and_transformIN3c104HalfEfPNS_17CUDAGeneratorImplEZZZNS4_13normal_kernelIS9_EEvRKNS_10TensorBaseEddT_ENKUlvE_clEvENKUlvE1_clEvEUlfE_EEvRNS_18TensorIteratorBaseET1_T2_EUlP25hiprandStatePhilox4_32_10E0_ZNS1_27distribution_nullary_kernelIS7_f15HIP_vector_typeIfLj4EES9_SO_SH_EEvSJ_SL_RKT3_T4_EUlifE0_EEvlNS_15PhiloxCudaStateESK_SL_
; %bb.0:
	s_load_dword s2, s[4:5], 0x20
	s_load_dwordx2 s[0:1], s[4:5], 0x10
	s_load_dwordx4 s[24:27], s[4:5], 0x0
	s_waitcnt lgkmcnt(0)
	s_bitcmp0_b32 s2, 0
	s_mov_b32 s2, 0
	v_pk_mov_b32 v[2:3], s[0:1], s[0:1] op_sel:[0,1]
	v_pk_mov_b32 v[10:11], s[26:27], s[26:27] op_sel:[0,1]
	s_cbranch_scc1 .LBB11_2
; %bb.1:
	v_pk_mov_b32 v[2:3], s[0:1], s[0:1] op_sel:[0,1]
	flat_load_dwordx2 v[2:3], v[2:3]
	v_pk_mov_b32 v[4:5], s[26:27], s[26:27] op_sel:[0,1]
	flat_load_dwordx2 v[10:11], v[4:5]
	s_load_dwordx2 s[0:1], s[4:5], 0x18
	s_waitcnt lgkmcnt(0)
	v_mov_b32_e32 v1, s1
	s_waitcnt vmcnt(0)
	v_add_co_u32_e32 v2, vcc, s0, v2
	v_addc_co_u32_e32 v3, vcc, v3, v1, vcc
.LBB11_2:
	s_load_dword s0, s[4:5], 0x154
	s_load_dword s7, s[4:5], 0x148
	s_waitcnt lgkmcnt(0)
	s_and_b32 s8, s0, 0xffff
	s_add_u32 s9, s24, -1
	s_mul_i32 s33, s7, s8
	s_addc_u32 s3, s25, -1
	s_lshl_b32 s60, s33, 2
	s_cmp_lg_u64 s[2:3], 0
	s_mov_b64 s[0:1], -1
	s_cbranch_scc0 .LBB11_83
; %bb.3:
	v_cvt_f32_u32_e32 v1, s60
	v_cvt_f32_ubyte0_e32 v4, 0
	s_sub_u32 s2, 0, s60
	s_subb_u32 s10, 0, 0
	v_madmk_f32 v1, v4, 0x4f800000, v1
	v_rcp_f32_e32 v1, v1
	v_mul_f32_e32 v1, 0x5f7ffffc, v1
	v_mul_f32_e32 v4, 0x2f800000, v1
	v_trunc_f32_e32 v4, v4
	v_madmk_f32 v1, v4, 0xcf800000, v1
	v_cvt_u32_f32_e32 v4, v4
	v_cvt_u32_f32_e32 v1, v1
	v_readfirstlane_b32 s11, v4
	v_readfirstlane_b32 s12, v1
	s_mul_i32 s13, s2, s11
	s_mul_hi_u32 s15, s2, s12
	s_mul_i32 s14, s10, s12
	s_add_i32 s13, s15, s13
	s_add_i32 s13, s13, s14
	s_mul_i32 s16, s2, s12
	s_mul_hi_u32 s14, s12, s13
	s_mul_i32 s15, s12, s13
	s_mul_hi_u32 s12, s12, s16
	s_add_u32 s12, s12, s15
	s_addc_u32 s14, 0, s14
	s_mul_hi_u32 s17, s11, s16
	s_mul_i32 s16, s11, s16
	s_add_u32 s12, s12, s16
	s_mul_hi_u32 s15, s11, s13
	s_addc_u32 s12, s14, s17
	s_addc_u32 s14, s15, 0
	s_mul_i32 s13, s11, s13
	s_add_u32 s12, s12, s13
	s_addc_u32 s13, 0, s14
	v_add_co_u32_e32 v1, vcc, s12, v1
	s_cmp_lg_u64 vcc, 0
	s_addc_u32 s11, s11, s13
	v_readfirstlane_b32 s13, v1
	s_mul_i32 s12, s2, s11
	s_mul_hi_u32 s14, s2, s13
	s_add_i32 s12, s14, s12
	s_mul_i32 s10, s10, s13
	s_add_i32 s12, s12, s10
	s_mul_i32 s2, s2, s13
	s_mul_hi_u32 s14, s11, s2
	s_mul_i32 s15, s11, s2
	s_mul_i32 s17, s13, s12
	s_mul_hi_u32 s2, s13, s2
	s_mul_hi_u32 s16, s13, s12
	s_add_u32 s2, s2, s17
	s_addc_u32 s13, 0, s16
	s_add_u32 s2, s2, s15
	s_mul_hi_u32 s10, s11, s12
	s_addc_u32 s2, s13, s14
	s_addc_u32 s10, s10, 0
	s_mul_i32 s12, s11, s12
	s_add_u32 s2, s2, s12
	s_addc_u32 s10, 0, s10
	v_add_co_u32_e32 v1, vcc, s2, v1
	s_cmp_lg_u64 vcc, 0
	s_addc_u32 s12, s11, s10
	s_ashr_i32 s10, s3, 31
	s_add_u32 s2, s9, s10
	s_mov_b32 s11, s10
	s_addc_u32 s3, s3, s10
	s_xor_b64 s[2:3], s[2:3], s[10:11]
	v_readfirstlane_b32 s15, v1
	s_mul_i32 s14, s2, s12
	s_mul_hi_u32 s16, s2, s15
	s_mul_hi_u32 s13, s2, s12
	s_add_u32 s14, s16, s14
	s_addc_u32 s13, 0, s13
	s_mul_hi_u32 s17, s3, s15
	s_mul_i32 s15, s3, s15
	s_add_u32 s14, s14, s15
	s_mul_hi_u32 s16, s3, s12
	s_addc_u32 s13, s13, s17
	s_addc_u32 s14, s16, 0
	s_mul_i32 s12, s3, s12
	s_add_u32 s12, s13, s12
	s_addc_u32 s13, 0, s14
	s_add_u32 s14, s12, 1
	s_addc_u32 s15, s13, 0
	s_add_u32 s16, s12, 2
	s_mul_i32 s18, s60, s13
	s_mul_hi_u32 s19, s60, s12
	s_addc_u32 s17, s13, 0
	s_add_i32 s19, s19, s18
	s_mul_i32 s18, s60, s12
	v_mov_b32_e32 v1, s18
	v_sub_co_u32_e32 v1, vcc, s2, v1
	s_cmp_lg_u64 vcc, 0
	s_subb_u32 s2, s3, s19
	v_subrev_co_u32_e32 v4, vcc, s60, v1
	s_cmp_lg_u64 vcc, 0
	s_subb_u32 s3, s2, 0
	v_readfirstlane_b32 s18, v4
	s_cmp_ge_u32 s18, s60
	s_cselect_b32 s18, -1, 0
	s_cmp_eq_u32 s3, 0
	s_cselect_b32 s3, s18, -1
	s_cmp_lg_u32 s3, 0
	s_cselect_b32 s3, s17, s15
	v_readfirstlane_b32 s15, v1
	s_cselect_b32 s14, s16, s14
	s_cmp_ge_u32 s15, s60
	s_cselect_b32 s15, -1, 0
	s_cmp_eq_u32 s2, 0
	s_cselect_b32 s2, s15, -1
	s_cmp_lg_u32 s2, 0
	s_cselect_b32 s3, s3, s13
	s_cselect_b32 s2, s14, s12
	s_xor_b64 s[2:3], s[2:3], s[10:11]
	s_sub_u32 s2, s2, s10
	s_subb_u32 s3, s3, s10
	s_cbranch_execnz .LBB11_5
.LBB11_4:
	v_cvt_f32_u32_e32 v1, s60
	s_sub_i32 s0, 0, s60
	s_mov_b32 s3, 0
	v_rcp_iflag_f32_e32 v1, v1
	v_mul_f32_e32 v1, 0x4f7ffffe, v1
	v_cvt_u32_f32_e32 v1, v1
	v_readfirstlane_b32 s1, v1
	s_mul_i32 s0, s0, s1
	s_mul_hi_u32 s0, s1, s0
	s_add_i32 s1, s1, s0
	s_mul_hi_u32 s0, s9, s1
	s_mul_i32 s2, s0, s60
	s_sub_i32 s2, s9, s2
	s_add_i32 s1, s0, 1
	s_sub_i32 s9, s2, s60
	s_cmp_ge_u32 s2, s60
	s_cselect_b32 s0, s1, s0
	s_cselect_b32 s2, s9, s2
	s_add_i32 s1, s0, 1
	s_cmp_ge_u32 s2, s60
	s_cselect_b32 s2, s1, s0
.LBB11_5:
	v_mov_b32_e32 v1, 0
	v_mov_b32_e32 v4, s6
	v_mad_u64_u32 v[12:13], s[0:1], s8, v4, v[0:1]
	s_add_u32 s0, s2, 1
	s_addc_u32 s1, s3, 0
	s_mul_hi_u32 s2, s7, s8
	s_mul_i32 s1, s33, s1
	s_mul_hi_u32 s3, s33, s0
	s_add_i32 s1, s3, s1
	s_mul_i32 s2, s2, s0
	s_add_i32 s1, s1, s2
	s_mul_i32 s0, s33, s0
	s_lshl_b64 s[26:27], s[0:1], 2
	v_cmp_gt_i64_e32 vcc, s[26:27], v[12:13]
	s_and_saveexec_b64 s[0:1], vcc
	s_cbranch_execz .LBB11_82
; %bb.6:
	s_mov_b32 s0, 0x5384540f
	v_mov_b32_e32 v0, v11
	v_add_co_u32_e32 v20, vcc, s0, v10
	s_mov_b32 s0, 0x646e171e
	v_add_co_u32_e32 v21, vcc, s0, v0
	s_mov_b32 s0, 0x1715609d
	;; [unrolled: 2-line block ×6, first 2 shown]
	v_alignbit_b32 v27, v3, v2, 2
	s_mov_b32 s62, 0xd2511f53
	v_add_co_u32_e32 v26, vcc, s0, v10
	v_mad_u64_u32 v[4:5], s[0:1], v27, s62, 0
	v_xor_b32_e32 v1, v5, v11
	v_xor_b32_e32 v1, v1, v13
	s_mov_b32 s63, 0xcd9e8d57
	v_mad_u64_u32 v[6:7], s[0:1], v1, s63, 0
	v_xor_b32_e32 v1, v26, v7
	v_mad_u64_u32 v[8:9], s[0:1], v12, s63, 0
	v_and_b32_e32 v16, 3, v2
	v_xor_b32_e32 v1, v1, v8
	v_xor_b32_e32 v2, v10, v9
	v_lshrrev_b32_e32 v28, 2, v3
	v_mad_u64_u32 v[14:15], s[0:1], v1, s62, 0
	v_xor_b32_e32 v2, v2, v28
	v_xor_b32_e32 v1, v25, v15
	v_mad_u64_u32 v[2:3], s[0:1], v2, s62, 0
	v_xor_b32_e32 v1, v1, v2
	v_mad_u64_u32 v[8:9], s[0:1], v1, s63, 0
	s_mov_b32 s0, 0xbb67ae85
	v_add_co_u32_e32 v29, vcc, s0, v0
	v_xor_b32_e32 v2, v29, v3
	v_xor_b32_e32 v2, v2, v4
	v_xor_b32_e32 v1, v24, v9
	v_mad_u64_u32 v[2:3], s[0:1], v2, s63, 0
	v_xor_b32_e32 v1, v1, v2
	v_mad_u64_u32 v[4:5], s[0:1], v1, s62, 0
	s_mov_b32 s0, 0x3c6ef372
	v_add_co_u32_e32 v30, vcc, s0, v10
	v_xor_b32_e32 v2, v30, v3
	;; [unrolled: 8-line block ×6, first 2 shown]
	v_add_co_u32_e32 v19, vcc, 0xdb3d7428, v0
	v_xor_b32_e32 v2, v2, v6
	v_xor_b32_e32 v1, v19, v39
	v_mad_u64_u32 v[2:3], s[0:1], v2, s62, 0
	v_xor_b32_e32 v1, v1, v2
	v_mad_u64_u32 v[40:41], s[0:1], v1, s63, 0
	s_mov_b32 s0, 0x1fd5c5a3
	v_add_co_u32_e32 v35, vcc, s0, v0
	v_xor_b32_e32 v0, v35, v3
	v_xor_b32_e32 v0, v0, v14
	v_mad_u64_u32 v[0:1], s[0:1], v0, s63, 0
	s_mov_b32 s0, 0xf1bbcdc8
	s_load_dwordx8 s[8:15], s[4:5], 0x30
	v_add_u32_e32 v17, 0x8ff34781, v10
	v_xor_b32_e32 v0, v41, v0
	v_add_co_u32_e32 v36, vcc, s0, v10
	v_xor_b32_e32 v4, v17, v0
	v_xor_b32_e32 v0, v36, v1
	;; [unrolled: 1-line block ×3, first 2 shown]
	s_add_u32 s34, s4, 48
	v_mad_u64_u32 v[0:1], s[0:1], v0, s62, 0
	s_addc_u32 s35, s5, 0
	s_waitcnt lgkmcnt(0)
	s_add_i32 s0, s8, -1
	s_cmp_gt_u32 s0, 1
	s_cselect_b64 s[40:41], -1, 0
	s_cmp_lg_u32 s8, 0
	s_cselect_b64 s[42:43], -1, 0
	s_add_u32 s44, s4, 0xf4
	s_addc_u32 s45, s5, 0
	s_min_u32 s1, s0, 15
	s_cmp_gt_u32 s8, 1
	s_cselect_b64 s[46:47], -1, 0
	s_add_i32 s1, s1, 1
	s_mov_b32 s8, s13
	s_load_dwordx2 s[48:49], s[4:5], 0xf4
	s_load_dwordx4 s[28:31], s[4:5], 0x138
	s_lshl_b32 s13, s33, 1
	s_and_b32 s66, s1, 3
	s_cmp_lg_u32 s0, 2
	s_cselect_b64 s[50:51], -1, 0
	s_and_b32 s67, s1, 28
	s_mov_b32 s61, 0
	v_add_u32_e32 v18, 0x96a522ad, v11
	v_xor_b32_e32 v1, v1, v38
	s_cmp_lg_u32 s66, 0
	v_xor_b32_e32 v6, v18, v1
	v_mov_b32_e32 v5, v40
	v_mov_b32_e32 v7, v0
	s_mov_b32 s15, s61
	s_mul_i32 s64, s33, 3
	s_mov_b32 s65, s61
	s_mov_b64 s[52:53], 0
	s_cselect_b64 s[54:55], -1, 0
	s_mov_b32 s68, 0x800000
	s_mov_b32 s69, 0x3f317217
	;; [unrolled: 1-line block ×4, first 2 shown]
	v_mov_b32_e32 v37, 0x260
	v_mov_b32_e32 v38, 0x4f800000
	;; [unrolled: 1-line block ×5, first 2 shown]
	s_branch .LBB11_9
.LBB11_7:                               ;   in Loop: Header=BB11_9 Depth=1
	v_mul_f32_e32 v3, 0.15915494, v3
	v_cos_f32_e32 v3, v3
	s_waitcnt lgkmcnt(0)
	v_mov_b32_e32 v4, s30
	v_mul_f32_e32 v3, v3, v8
	v_fma_mixlo_f16 v3, v3, s31, v4
	global_store_short v6, v3, s[28:29]
.LBB11_8:                               ;   in Loop: Header=BB11_9 Depth=1
	s_or_b64 exec, exec, s[36:37]
	v_add_co_u32_e32 v12, vcc, s60, v12
	v_mov_b32_e32 v3, v14
	v_addc_co_u32_e32 v13, vcc, 0, v13, vcc
	v_cmp_le_i64_e32 vcc, s[26:27], v[12:13]
	v_pk_mov_b32 v[6:7], v[2:3], v[2:3] op_sel:[0,1]
	s_or_b64 s[52:53], vcc, s[52:53]
	v_pk_mov_b32 v[4:5], v[0:1], v[0:1] op_sel:[0,1]
	s_waitcnt lgkmcnt(0)
	s_barrier
	s_andn2_b64 exec, exec, s[52:53]
	s_cbranch_execz .LBB11_82
.LBB11_9:                               ; =>This Loop Header: Depth=1
                                        ;     Child Loop BB11_24 Depth 2
                                        ;     Child Loop BB11_30 Depth 2
	;; [unrolled: 1-line block ×8, first 2 shown]
	v_add_co_u32_e32 v27, vcc, 1, v27
	v_cndmask_b32_e64 v0, 0, 1, vcc
	v_addc_co_u32_e32 v28, vcc, 0, v28, vcc
	v_cmp_eq_u32_e32 vcc, 0, v28
	v_cndmask_b32_e32 v0, 0, v0, vcc
	v_add_u32_e32 v40, v0, v40
	v_cmp_eq_u32_e32 vcc, 0, v40
	v_cndmask_b32_e32 v0, 0, v0, vcc
	v_add_u32_e32 v41, v0, v41
	v_mad_u64_u32 v[0:1], s[0:1], v27, s62, 0
	v_mad_u64_u32 v[2:3], s[0:1], v40, s63, 0
	v_xor_b32_e32 v1, v1, v11
	v_xor_b32_e32 v3, v3, v10
	v_xor_b32_e32 v1, v41, v1
	v_xor_b32_e32 v3, v28, v3
	v_mad_u64_u32 v[14:15], s[0:1], v1, s63, 0
	v_mad_u64_u32 v[8:9], s[0:1], v3, s62, 0
	v_xor_b32_e32 v1, v26, v15
	v_xor_b32_e32 v1, v1, v2
	v_xor_b32_e32 v2, v29, v9
	v_xor_b32_e32 v2, v2, v0
	;; [unrolled: 6-line block ×10, first 2 shown]
	v_mov_b32_e32 v1, v8
	v_mov_b32_e32 v2, v9
	v_cmp_lt_i32_e32 vcc, 1, v16
	s_and_saveexec_b64 s[0:1], vcc
	s_xor_b64 s[0:1], exec, s[0:1]
	s_cbranch_execz .LBB11_15
; %bb.10:                               ;   in Loop: Header=BB11_9 Depth=1
	v_cmp_lt_i32_e32 vcc, 2, v16
	s_and_saveexec_b64 s[2:3], vcc
	s_xor_b64 s[2:3], exec, s[2:3]
; %bb.11:                               ;   in Loop: Header=BB11_9 Depth=1
	v_mov_b32_e32 v6, v7
	v_mov_b32_e32 v7, v0
	v_pk_mov_b32 v[4:5], v[6:7], v[6:7] op_sel:[0,1]
	v_pk_mov_b32 v[6:7], v[8:9], v[8:9] op_sel:[0,1]
                                        ; implicit-def: $vgpr8_vgpr9
; %bb.12:                               ;   in Loop: Header=BB11_9 Depth=1
	s_andn2_saveexec_b64 s[2:3], s[2:3]
; %bb.13:                               ;   in Loop: Header=BB11_9 Depth=1
	v_mov_b32_e32 v4, v6
	v_mov_b32_e32 v5, v7
	;; [unrolled: 1-line block ×4, first 2 shown]
; %bb.14:                               ;   in Loop: Header=BB11_9 Depth=1
	s_or_b64 exec, exec, s[2:3]
.LBB11_15:                              ;   in Loop: Header=BB11_9 Depth=1
	s_andn2_saveexec_b64 s[0:1], s[0:1]
	s_cbranch_execz .LBB11_19
; %bb.16:                               ;   in Loop: Header=BB11_9 Depth=1
	v_cmp_eq_u32_e32 vcc, 1, v16
	s_and_saveexec_b64 s[2:3], vcc
; %bb.17:                               ;   in Loop: Header=BB11_9 Depth=1
	v_mov_b32_e32 v4, v5
	v_mov_b32_e32 v5, v6
	;; [unrolled: 1-line block ×4, first 2 shown]
; %bb.18:                               ;   in Loop: Header=BB11_9 Depth=1
	s_or_b64 exec, exec, s[2:3]
.LBB11_19:                              ;   in Loop: Header=BB11_9 Depth=1
	s_or_b64 exec, exec, s[0:1]
	v_cvt_f32_u32_e32 v3, v4
	v_mov_b32_e32 v4, 0x2f800000
	v_fmac_f32_e32 v4, 0x2f800000, v3
	v_cmp_gt_f32_e32 vcc, s68, v4
	v_cndmask_b32_e32 v3, 1.0, v38, vcc
	v_mul_f32_e32 v3, v4, v3
	v_log_f32_e32 v3, v3
	v_cvt_f32_u32_e32 v4, v5
	v_cndmask_b32_e32 v5, 0, v39, vcc
	v_mul_f32_e32 v8, 0x3f317217, v3
	v_fma_f32 v9, v3, s69, -v8
	v_fmac_f32_e32 v9, 0x3377d1cf, v3
	v_add_f32_e32 v8, v8, v9
	v_cmp_lt_f32_e64 vcc, |v3|, s70
	v_cndmask_b32_e32 v3, v3, v8, vcc
	v_sub_f32_e32 v3, v3, v5
	v_mul_f32_e32 v3, -2.0, v3
	v_mul_f32_e32 v5, 0x4f800000, v3
	v_cmp_gt_f32_e32 vcc, s71, v3
	v_cndmask_b32_e32 v5, v3, v5, vcc
	v_sqrt_f32_e32 v8, v5
	v_mov_b32_e32 v3, 0x30c90fdb
	v_fmac_f32_e32 v3, 0x30c90fdb, v4
	v_add_u32_e32 v4, -1, v8
	v_fma_f32 v9, -v4, v8, v5
	v_cmp_ge_f32_e64 s[0:1], 0, v9
	v_add_u32_e32 v9, 1, v8
	v_cndmask_b32_e64 v4, v8, v4, s[0:1]
	v_fma_f32 v8, -v9, v8, v5
	v_cmp_lt_f32_e64 s[0:1], 0, v8
	v_cndmask_b32_e64 v4, v4, v9, s[0:1]
	v_mul_f32_e32 v8, 0x37800000, v4
	v_cndmask_b32_e32 v4, v4, v8, vcc
	v_cmp_class_f32_e32 vcc, v5, v37
	v_cndmask_b32_e32 v15, v4, v5, vcc
	v_cndmask_b32_e64 v4, 0, 1, s[40:41]
	v_cmp_gt_i64_e32 vcc, s[24:25], v[12:13]
	v_cmp_ne_u32_e64 s[0:1], 1, v4
	s_and_saveexec_b64 s[2:3], vcc
	s_cbranch_execz .LBB11_35
; %bb.20:                               ;   in Loop: Header=BB11_9 Depth=1
	s_and_b64 vcc, exec, s[0:1]
	s_cbranch_vccnz .LBB11_26
; %bb.21:                               ;   in Loop: Header=BB11_9 Depth=1
	s_andn2_b64 vcc, exec, s[42:43]
	s_cbranch_vccnz .LBB11_27
; %bb.22:                               ;   in Loop: Header=BB11_9 Depth=1
	s_mov_b32 s6, 0
	s_andn2_b64 vcc, exec, s[50:51]
	v_mov_b32_e32 v4, 0
	s_cbranch_vccnz .LBB11_28
; %bb.23:                               ;   in Loop: Header=BB11_9 Depth=1
	s_mov_b32 s72, 0
	v_mov_b32_e32 v4, 0
	s_mov_b64 s[56:57], s[34:35]
	s_mov_b64 s[58:59], s[44:45]
	v_mov_b32_e32 v8, v12
.LBB11_24:                              ;   Parent Loop BB11_9 Depth=1
                                        ; =>  This Inner Loop Header: Depth=2
	s_load_dwordx8 s[16:23], s[56:57], 0x4
	s_load_dwordx4 s[4:7], s[56:57], 0x24
	s_load_dwordx4 s[36:39], s[58:59], 0x0
	s_add_u32 s56, s56, 48
	s_addc_u32 s57, s57, 0
	s_waitcnt lgkmcnt(0)
	v_mul_hi_u32 v5, s17, v8
	v_add_u32_e32 v5, v8, v5
	v_lshrrev_b32_e32 v5, s18, v5
	v_mul_lo_u32 v9, v5, s16
	v_mul_hi_u32 v42, s20, v5
	v_sub_u32_e32 v8, v8, v9
	v_add_u32_e32 v9, v5, v42
	v_lshrrev_b32_e32 v9, s21, v9
	v_mul_lo_u32 v42, v9, s19
	v_mul_hi_u32 v43, s23, v9
	v_sub_u32_e32 v5, v5, v42
	v_add_u32_e32 v42, v9, v43
	v_mul_lo_u32 v8, v8, s36
	v_mul_lo_u32 v5, v5, s37
	v_lshrrev_b32_e32 v42, s4, v42
	v_add3_u32 v4, v8, v4, v5
	v_mul_hi_u32 v8, s6, v42
	v_add_u32_e32 v8, v42, v8
	v_mul_lo_u32 v5, v42, s22
	v_lshrrev_b32_e32 v8, s7, v8
	s_add_i32 s72, s72, 4
	v_sub_u32_e32 v5, v9, v5
	v_mul_lo_u32 v9, v8, s5
	s_add_u32 s58, s58, 16
	v_sub_u32_e32 v9, v42, v9
	s_addc_u32 s59, s59, 0
	v_mul_lo_u32 v5, v5, s38
	v_mul_lo_u32 v9, v9, s39
	s_cmp_lg_u32 s67, s72
	v_add3_u32 v4, v5, v4, v9
	s_cbranch_scc1 .LBB11_24
; %bb.25:                               ;   in Loop: Header=BB11_9 Depth=1
	s_mov_b32 s6, s67
	s_andn2_b64 vcc, exec, s[54:55]
	s_cbranch_vccz .LBB11_29
	s_branch .LBB11_31
.LBB11_26:                              ;   in Loop: Header=BB11_9 Depth=1
                                        ; implicit-def: $vgpr4
	s_branch .LBB11_32
.LBB11_27:                              ;   in Loop: Header=BB11_9 Depth=1
	v_mov_b32_e32 v4, 0
	s_branch .LBB11_31
.LBB11_28:                              ;   in Loop: Header=BB11_9 Depth=1
	v_mov_b32_e32 v8, v12
	s_andn2_b64 vcc, exec, s[54:55]
	s_cbranch_vccnz .LBB11_31
.LBB11_29:                              ;   in Loop: Header=BB11_9 Depth=1
	s_lshl_b32 s4, s6, 2
	s_add_u32 s4, s44, s4
	s_addc_u32 s5, s45, 0
	s_mul_i32 s6, s6, 12
	s_add_u32 s6, s34, s6
	s_addc_u32 s7, s35, 0
	s_mov_b32 s16, s66
.LBB11_30:                              ;   Parent Loop BB11_9 Depth=1
                                        ; =>  This Inner Loop Header: Depth=2
	s_load_dwordx2 s[18:19], s[6:7], 0x4
	s_load_dword s17, s[6:7], 0xc
	s_load_dword s20, s[4:5], 0x0
	s_add_u32 s6, s6, 12
	s_addc_u32 s7, s7, 0
	s_waitcnt lgkmcnt(0)
	v_mul_hi_u32 v5, s19, v8
	v_add_u32_e32 v5, v8, v5
	v_lshrrev_b32_e32 v5, s17, v5
	s_add_u32 s4, s4, 4
	v_mul_lo_u32 v9, v5, s18
	s_addc_u32 s5, s5, 0
	s_add_i32 s16, s16, -1
	v_sub_u32_e32 v9, v8, v9
	s_cmp_lg_u32 s16, 0
	v_mov_b32_e32 v8, v5
	v_mad_u64_u32 v[4:5], s[18:19], v9, s20, v[4:5]
	s_cbranch_scc1 .LBB11_30
.LBB11_31:                              ;   in Loop: Header=BB11_9 Depth=1
	s_cbranch_execnz .LBB11_34
.LBB11_32:                              ;   in Loop: Header=BB11_9 Depth=1
	v_mul_hi_u32 v4, v12, s10
	v_add_u32_e32 v4, v4, v12
	v_lshrrev_b32_e32 v5, s11, v4
	v_mul_lo_u32 v4, v5, s9
	v_sub_u32_e32 v4, v12, v4
	s_andn2_b64 vcc, exec, s[46:47]
	s_waitcnt lgkmcnt(0)
	v_mul_lo_u32 v4, v4, s48
	s_cbranch_vccnz .LBB11_34
; %bb.33:                               ;   in Loop: Header=BB11_9 Depth=1
	v_mul_hi_u32 v8, s8, v5
	v_add_u32_e32 v8, v5, v8
	v_lshrrev_b32_e32 v8, s14, v8
	v_mul_lo_u32 v8, v8, s12
	v_sub_u32_e32 v5, v5, v8
	v_mad_u64_u32 v[4:5], s[4:5], v5, s49, v[4:5]
.LBB11_34:                              ;   in Loop: Header=BB11_9 Depth=1
	v_mul_f32_e32 v5, 0.15915494, v3
	v_sin_f32_e32 v5, v5
	s_waitcnt lgkmcnt(0)
	v_mov_b32_e32 v8, s30
	v_mul_f32_e32 v5, v5, v15
	v_fma_mixlo_f16 v5, v5, s31, v8
	global_store_short v4, v5, s[28:29]
.LBB11_35:                              ;   in Loop: Header=BB11_9 Depth=1
	s_or_b64 exec, exec, s[2:3]
	v_mov_b32_e32 v5, s61
	v_add_co_u32_e32 v4, vcc, s33, v12
	v_addc_co_u32_e32 v5, vcc, v13, v5, vcc
	v_cmp_gt_i64_e32 vcc, s[24:25], v[4:5]
	s_and_saveexec_b64 s[2:3], vcc
	s_cbranch_execz .LBB11_51
; %bb.36:                               ;   in Loop: Header=BB11_9 Depth=1
	s_and_b64 vcc, exec, s[0:1]
	s_cbranch_vccnz .LBB11_42
; %bb.37:                               ;   in Loop: Header=BB11_9 Depth=1
	s_andn2_b64 vcc, exec, s[42:43]
	s_cbranch_vccnz .LBB11_43
; %bb.38:                               ;   in Loop: Header=BB11_9 Depth=1
	s_mov_b32 s6, 0
	s_andn2_b64 vcc, exec, s[50:51]
	v_mov_b32_e32 v8, 0
	s_cbranch_vccnz .LBB11_44
; %bb.39:                               ;   in Loop: Header=BB11_9 Depth=1
	s_mov_b32 s72, 0
	v_mov_b32_e32 v8, 0
	s_mov_b64 s[56:57], s[34:35]
	s_mov_b64 s[58:59], s[44:45]
	v_mov_b32_e32 v5, v4
.LBB11_40:                              ;   Parent Loop BB11_9 Depth=1
                                        ; =>  This Inner Loop Header: Depth=2
	s_load_dwordx8 s[16:23], s[56:57], 0x4
	s_load_dwordx4 s[4:7], s[56:57], 0x24
	s_load_dwordx4 s[36:39], s[58:59], 0x0
	s_add_u32 s56, s56, 48
	s_addc_u32 s57, s57, 0
	s_waitcnt lgkmcnt(0)
	v_mul_hi_u32 v9, s17, v5
	v_add_u32_e32 v9, v5, v9
	v_lshrrev_b32_e32 v9, s18, v9
	v_mul_lo_u32 v42, v9, s16
	v_mul_hi_u32 v43, s20, v9
	v_sub_u32_e32 v5, v5, v42
	v_add_u32_e32 v42, v9, v43
	v_lshrrev_b32_e32 v42, s21, v42
	v_mul_lo_u32 v43, v42, s19
	v_mul_hi_u32 v44, s23, v42
	v_sub_u32_e32 v9, v9, v43
	v_add_u32_e32 v43, v42, v44
	v_mul_lo_u32 v5, v5, s36
	v_mul_lo_u32 v9, v9, s37
	v_lshrrev_b32_e32 v43, s4, v43
	v_add3_u32 v8, v5, v8, v9
	v_mul_lo_u32 v5, v43, s22
	v_mul_hi_u32 v9, s6, v43
	v_sub_u32_e32 v5, v42, v5
	v_add_u32_e32 v9, v43, v9
	v_mul_lo_u32 v42, v5, s38
	v_lshrrev_b32_e32 v5, s7, v9
	s_add_i32 s72, s72, 4
	v_mul_lo_u32 v9, v5, s5
	s_add_u32 s58, s58, 16
	v_sub_u32_e32 v9, v43, v9
	s_addc_u32 s59, s59, 0
	v_mul_lo_u32 v9, v9, s39
	s_cmp_eq_u32 s67, s72
	v_add3_u32 v8, v42, v8, v9
	s_cbranch_scc0 .LBB11_40
; %bb.41:                               ;   in Loop: Header=BB11_9 Depth=1
	s_mov_b32 s6, s67
	s_andn2_b64 vcc, exec, s[54:55]
	s_cbranch_vccz .LBB11_45
	s_branch .LBB11_47
.LBB11_42:                              ;   in Loop: Header=BB11_9 Depth=1
                                        ; implicit-def: $vgpr8
	s_branch .LBB11_48
.LBB11_43:                              ;   in Loop: Header=BB11_9 Depth=1
	v_mov_b32_e32 v8, 0
	s_branch .LBB11_47
.LBB11_44:                              ;   in Loop: Header=BB11_9 Depth=1
	v_mov_b32_e32 v5, v4
	s_andn2_b64 vcc, exec, s[54:55]
	s_cbranch_vccnz .LBB11_47
.LBB11_45:                              ;   in Loop: Header=BB11_9 Depth=1
	s_lshl_b32 s4, s6, 2
	s_add_u32 s4, s44, s4
	s_addc_u32 s5, s45, 0
	s_mul_i32 s6, s6, 12
	s_add_u32 s6, s34, s6
	s_addc_u32 s7, s35, 0
	s_mov_b32 s16, s66
.LBB11_46:                              ;   Parent Loop BB11_9 Depth=1
                                        ; =>  This Inner Loop Header: Depth=2
	s_load_dwordx2 s[18:19], s[6:7], 0x4
	s_load_dword s17, s[6:7], 0xc
	s_load_dword s20, s[4:5], 0x0
	s_add_u32 s6, s6, 12
	s_addc_u32 s7, s7, 0
	s_waitcnt lgkmcnt(0)
	v_mul_hi_u32 v9, s19, v5
	v_add_u32_e32 v9, v5, v9
	v_lshrrev_b32_e32 v9, s17, v9
	s_add_u32 s4, s4, 4
	v_mul_lo_u32 v42, v9, s18
	s_addc_u32 s5, s5, 0
	s_add_i32 s16, s16, -1
	v_sub_u32_e32 v42, v5, v42
	s_cmp_lg_u32 s16, 0
	v_mov_b32_e32 v5, v9
	v_mad_u64_u32 v[8:9], s[18:19], v42, s20, v[8:9]
	s_cbranch_scc1 .LBB11_46
.LBB11_47:                              ;   in Loop: Header=BB11_9 Depth=1
	s_cbranch_execnz .LBB11_50
.LBB11_48:                              ;   in Loop: Header=BB11_9 Depth=1
	v_mul_hi_u32 v5, v4, s10
	v_add_u32_e32 v5, v5, v4
	v_lshrrev_b32_e32 v5, s11, v5
	v_mul_lo_u32 v8, v5, s9
	v_sub_u32_e32 v4, v4, v8
	s_andn2_b64 vcc, exec, s[46:47]
	s_waitcnt lgkmcnt(0)
	v_mul_lo_u32 v8, v4, s48
	s_cbranch_vccnz .LBB11_50
; %bb.49:                               ;   in Loop: Header=BB11_9 Depth=1
	v_mul_hi_u32 v4, s8, v5
	v_add_u32_e32 v4, v5, v4
	v_lshrrev_b32_e32 v4, s14, v4
	v_mul_lo_u32 v4, v4, s12
	v_sub_u32_e32 v4, v5, v4
	v_mad_u64_u32 v[8:9], s[4:5], v4, s49, v[8:9]
.LBB11_50:                              ;   in Loop: Header=BB11_9 Depth=1
	v_mul_f32_e32 v3, 0.15915494, v3
	v_cos_f32_e32 v3, v3
	s_waitcnt lgkmcnt(0)
	v_mov_b32_e32 v4, s30
	v_mul_f32_e32 v3, v3, v15
	v_fma_mixlo_f16 v3, v3, s31, v4
	global_store_short v8, v3, s[28:29]
.LBB11_51:                              ;   in Loop: Header=BB11_9 Depth=1
	s_or_b64 exec, exec, s[2:3]
	v_cvt_f32_u32_e32 v3, v6
	v_mov_b32_e32 v4, 0x2f800000
	v_fmac_f32_e32 v4, 0x2f800000, v3
	v_cmp_gt_f32_e32 vcc, s68, v4
	v_cndmask_b32_e32 v3, 1.0, v38, vcc
	v_mul_f32_e32 v3, v4, v3
	v_log_f32_e32 v3, v3
	v_cvt_f32_u32_e32 v4, v7
	v_cndmask_b32_e32 v5, 0, v39, vcc
	v_mul_f32_e32 v6, 0x3f317217, v3
	v_fma_f32 v7, v3, s69, -v6
	v_fmac_f32_e32 v7, 0x3377d1cf, v3
	v_add_f32_e32 v6, v6, v7
	v_cmp_lt_f32_e64 vcc, |v3|, s70
	v_cndmask_b32_e32 v3, v3, v6, vcc
	v_sub_f32_e32 v3, v3, v5
	v_mul_f32_e32 v3, -2.0, v3
	v_mul_f32_e32 v5, 0x4f800000, v3
	v_cmp_gt_f32_e32 vcc, s71, v3
	v_cndmask_b32_e32 v5, v3, v5, vcc
	v_sqrt_f32_e32 v6, v5
	v_mov_b32_e32 v3, 0x30c90fdb
	v_fmac_f32_e32 v3, 0x30c90fdb, v4
	v_add_u32_e32 v4, -1, v6
	v_fma_f32 v7, -v4, v6, v5
	v_cmp_ge_f32_e64 s[2:3], 0, v7
	v_add_u32_e32 v7, 1, v6
	v_cndmask_b32_e64 v4, v6, v4, s[2:3]
	v_fma_f32 v6, -v7, v6, v5
	v_cmp_lt_f32_e64 s[2:3], 0, v6
	v_cndmask_b32_e64 v4, v4, v7, s[2:3]
	v_mul_f32_e32 v6, 0x37800000, v4
	v_cndmask_b32_e32 v4, v4, v6, vcc
	v_cmp_class_f32_e32 vcc, v5, v37
	v_cndmask_b32_e32 v8, v4, v5, vcc
	v_mov_b32_e32 v5, s15
	v_add_co_u32_e32 v4, vcc, s13, v12
	v_addc_co_u32_e32 v5, vcc, v13, v5, vcc
	v_cmp_gt_i64_e32 vcc, s[24:25], v[4:5]
	s_and_saveexec_b64 s[2:3], vcc
	s_cbranch_execz .LBB11_67
; %bb.52:                               ;   in Loop: Header=BB11_9 Depth=1
	s_and_b64 vcc, exec, s[0:1]
	s_cbranch_vccnz .LBB11_58
; %bb.53:                               ;   in Loop: Header=BB11_9 Depth=1
	s_andn2_b64 vcc, exec, s[42:43]
	s_cbranch_vccnz .LBB11_59
; %bb.54:                               ;   in Loop: Header=BB11_9 Depth=1
	s_mov_b32 s6, 0
	s_andn2_b64 vcc, exec, s[50:51]
	v_mov_b32_e32 v6, 0
	s_cbranch_vccnz .LBB11_60
; %bb.55:                               ;   in Loop: Header=BB11_9 Depth=1
	s_mov_b32 s72, 0
	v_mov_b32_e32 v6, 0
	s_mov_b64 s[56:57], s[34:35]
	s_mov_b64 s[58:59], s[44:45]
	v_mov_b32_e32 v5, v4
.LBB11_56:                              ;   Parent Loop BB11_9 Depth=1
                                        ; =>  This Inner Loop Header: Depth=2
	s_load_dwordx8 s[16:23], s[56:57], 0x4
	s_load_dwordx4 s[4:7], s[56:57], 0x24
	s_load_dwordx4 s[36:39], s[58:59], 0x0
	s_add_u32 s56, s56, 48
	s_addc_u32 s57, s57, 0
	s_waitcnt lgkmcnt(0)
	v_mul_hi_u32 v7, s17, v5
	v_add_u32_e32 v7, v5, v7
	v_lshrrev_b32_e32 v7, s18, v7
	v_mul_lo_u32 v9, v7, s16
	v_mul_hi_u32 v15, s20, v7
	v_sub_u32_e32 v5, v5, v9
	v_add_u32_e32 v9, v7, v15
	v_lshrrev_b32_e32 v9, s21, v9
	v_mul_lo_u32 v15, v9, s19
	v_mul_hi_u32 v42, s23, v9
	v_sub_u32_e32 v7, v7, v15
	v_add_u32_e32 v15, v9, v42
	v_mul_lo_u32 v5, v5, s36
	v_mul_lo_u32 v7, v7, s37
	v_lshrrev_b32_e32 v15, s4, v15
	v_add3_u32 v6, v5, v6, v7
	v_mul_lo_u32 v5, v15, s22
	v_mul_hi_u32 v7, s6, v15
	v_sub_u32_e32 v5, v9, v5
	v_add_u32_e32 v7, v15, v7
	v_mul_lo_u32 v9, v5, s38
	v_lshrrev_b32_e32 v5, s7, v7
	s_add_i32 s72, s72, 4
	v_mul_lo_u32 v7, v5, s5
	s_add_u32 s58, s58, 16
	v_sub_u32_e32 v7, v15, v7
	s_addc_u32 s59, s59, 0
	v_mul_lo_u32 v7, v7, s39
	s_cmp_eq_u32 s67, s72
	v_add3_u32 v6, v9, v6, v7
	s_cbranch_scc0 .LBB11_56
; %bb.57:                               ;   in Loop: Header=BB11_9 Depth=1
	s_mov_b32 s6, s67
	s_andn2_b64 vcc, exec, s[54:55]
	s_cbranch_vccz .LBB11_61
	s_branch .LBB11_63
.LBB11_58:                              ;   in Loop: Header=BB11_9 Depth=1
                                        ; implicit-def: $vgpr6
	s_branch .LBB11_64
.LBB11_59:                              ;   in Loop: Header=BB11_9 Depth=1
	v_mov_b32_e32 v6, 0
	s_branch .LBB11_63
.LBB11_60:                              ;   in Loop: Header=BB11_9 Depth=1
	v_mov_b32_e32 v5, v4
	s_andn2_b64 vcc, exec, s[54:55]
	s_cbranch_vccnz .LBB11_63
.LBB11_61:                              ;   in Loop: Header=BB11_9 Depth=1
	s_lshl_b32 s4, s6, 2
	s_add_u32 s4, s44, s4
	s_addc_u32 s5, s45, 0
	s_mul_i32 s6, s6, 12
	s_add_u32 s6, s34, s6
	s_addc_u32 s7, s35, 0
	s_mov_b32 s16, s66
.LBB11_62:                              ;   Parent Loop BB11_9 Depth=1
                                        ; =>  This Inner Loop Header: Depth=2
	s_load_dwordx2 s[18:19], s[6:7], 0x4
	s_load_dword s17, s[6:7], 0xc
	s_load_dword s20, s[4:5], 0x0
	s_add_u32 s6, s6, 12
	s_addc_u32 s7, s7, 0
	s_waitcnt lgkmcnt(0)
	v_mul_hi_u32 v7, s19, v5
	v_add_u32_e32 v7, v5, v7
	v_lshrrev_b32_e32 v7, s17, v7
	s_add_u32 s4, s4, 4
	v_mul_lo_u32 v9, v7, s18
	s_addc_u32 s5, s5, 0
	s_add_i32 s16, s16, -1
	v_sub_u32_e32 v9, v5, v9
	s_cmp_lg_u32 s16, 0
	v_mov_b32_e32 v5, v7
	v_mad_u64_u32 v[6:7], s[18:19], v9, s20, v[6:7]
	s_cbranch_scc1 .LBB11_62
.LBB11_63:                              ;   in Loop: Header=BB11_9 Depth=1
	s_cbranch_execnz .LBB11_66
.LBB11_64:                              ;   in Loop: Header=BB11_9 Depth=1
	v_mul_hi_u32 v5, v4, s10
	v_add_u32_e32 v5, v5, v4
	v_lshrrev_b32_e32 v5, s11, v5
	v_mul_lo_u32 v6, v5, s9
	v_sub_u32_e32 v4, v4, v6
	s_andn2_b64 vcc, exec, s[46:47]
	s_waitcnt lgkmcnt(0)
	v_mul_lo_u32 v6, v4, s48
	s_cbranch_vccnz .LBB11_66
; %bb.65:                               ;   in Loop: Header=BB11_9 Depth=1
	v_mul_hi_u32 v4, s8, v5
	v_add_u32_e32 v4, v5, v4
	v_lshrrev_b32_e32 v4, s14, v4
	v_mul_lo_u32 v4, v4, s12
	v_sub_u32_e32 v4, v5, v4
	v_mad_u64_u32 v[6:7], s[4:5], v4, s49, v[6:7]
.LBB11_66:                              ;   in Loop: Header=BB11_9 Depth=1
	v_mul_f32_e32 v4, 0.15915494, v3
	v_sin_f32_e32 v4, v4
	s_waitcnt lgkmcnt(0)
	v_mov_b32_e32 v5, s30
	v_mul_f32_e32 v4, v4, v8
	v_fma_mixlo_f16 v4, v4, s31, v5
	global_store_short v6, v4, s[28:29]
.LBB11_67:                              ;   in Loop: Header=BB11_9 Depth=1
	s_or_b64 exec, exec, s[2:3]
	v_mov_b32_e32 v5, s65
	v_add_co_u32_e32 v4, vcc, s64, v12
	v_addc_co_u32_e32 v5, vcc, v13, v5, vcc
	v_cmp_gt_i64_e32 vcc, s[24:25], v[4:5]
	s_and_saveexec_b64 s[36:37], vcc
	s_cbranch_execz .LBB11_8
; %bb.68:                               ;   in Loop: Header=BB11_9 Depth=1
	s_and_b64 vcc, exec, s[0:1]
	s_cbranch_vccnz .LBB11_74
; %bb.69:                               ;   in Loop: Header=BB11_9 Depth=1
	s_andn2_b64 vcc, exec, s[42:43]
	s_cbranch_vccnz .LBB11_75
; %bb.70:                               ;   in Loop: Header=BB11_9 Depth=1
	s_mov_b32 s2, 0
	s_andn2_b64 vcc, exec, s[50:51]
	v_mov_b32_e32 v6, 0
	s_cbranch_vccnz .LBB11_76
; %bb.71:                               ;   in Loop: Header=BB11_9 Depth=1
	s_mov_b32 s58, 0
	v_mov_b32_e32 v6, 0
	s_mov_b64 s[38:39], s[34:35]
	s_mov_b64 s[56:57], s[44:45]
	v_mov_b32_e32 v5, v4
.LBB11_72:                              ;   Parent Loop BB11_9 Depth=1
                                        ; =>  This Inner Loop Header: Depth=2
	s_load_dwordx8 s[0:7], s[38:39], 0x4
	s_load_dwordx4 s[16:19], s[38:39], 0x24
	s_load_dwordx4 s[20:23], s[56:57], 0x0
	s_add_u32 s38, s38, 48
	s_addc_u32 s39, s39, 0
	s_waitcnt lgkmcnt(0)
	v_mul_hi_u32 v7, s1, v5
	v_add_u32_e32 v7, v5, v7
	v_lshrrev_b32_e32 v7, s2, v7
	v_mul_lo_u32 v9, v7, s0
	v_mul_hi_u32 v15, s4, v7
	v_sub_u32_e32 v5, v5, v9
	v_add_u32_e32 v9, v7, v15
	v_lshrrev_b32_e32 v9, s5, v9
	v_mul_lo_u32 v15, v9, s3
	v_mul_hi_u32 v42, s7, v9
	v_sub_u32_e32 v7, v7, v15
	v_add_u32_e32 v15, v9, v42
	v_mul_lo_u32 v5, v5, s20
	v_mul_lo_u32 v7, v7, s21
	v_lshrrev_b32_e32 v15, s16, v15
	v_add3_u32 v6, v5, v6, v7
	v_mul_lo_u32 v5, v15, s6
	v_mul_hi_u32 v7, s18, v15
	v_sub_u32_e32 v5, v9, v5
	v_add_u32_e32 v7, v15, v7
	v_mul_lo_u32 v9, v5, s22
	v_lshrrev_b32_e32 v5, s19, v7
	s_add_i32 s58, s58, 4
	v_mul_lo_u32 v7, v5, s17
	s_add_u32 s56, s56, 16
	v_sub_u32_e32 v7, v15, v7
	s_addc_u32 s57, s57, 0
	v_mul_lo_u32 v7, v7, s23
	s_cmp_eq_u32 s67, s58
	v_add3_u32 v6, v9, v6, v7
	s_cbranch_scc0 .LBB11_72
; %bb.73:                               ;   in Loop: Header=BB11_9 Depth=1
	s_mov_b32 s2, s67
	s_andn2_b64 vcc, exec, s[54:55]
	s_cbranch_vccz .LBB11_77
	s_branch .LBB11_79
.LBB11_74:                              ;   in Loop: Header=BB11_9 Depth=1
                                        ; implicit-def: $vgpr6
	s_branch .LBB11_80
.LBB11_75:                              ;   in Loop: Header=BB11_9 Depth=1
	v_mov_b32_e32 v6, 0
	s_branch .LBB11_79
.LBB11_76:                              ;   in Loop: Header=BB11_9 Depth=1
	v_mov_b32_e32 v5, v4
	s_andn2_b64 vcc, exec, s[54:55]
	s_cbranch_vccnz .LBB11_79
.LBB11_77:                              ;   in Loop: Header=BB11_9 Depth=1
	s_lshl_b32 s0, s2, 2
	s_add_u32 s0, s44, s0
	s_addc_u32 s1, s45, 0
	s_mul_i32 s2, s2, 12
	s_add_u32 s2, s34, s2
	s_addc_u32 s3, s35, 0
	s_mov_b32 s4, s66
.LBB11_78:                              ;   Parent Loop BB11_9 Depth=1
                                        ; =>  This Inner Loop Header: Depth=2
	s_load_dwordx2 s[6:7], s[2:3], 0x4
	s_load_dword s5, s[2:3], 0xc
	s_load_dword s16, s[0:1], 0x0
	s_add_u32 s2, s2, 12
	s_addc_u32 s3, s3, 0
	s_waitcnt lgkmcnt(0)
	v_mul_hi_u32 v7, s7, v5
	v_add_u32_e32 v7, v5, v7
	v_lshrrev_b32_e32 v7, s5, v7
	s_add_u32 s0, s0, 4
	v_mul_lo_u32 v9, v7, s6
	s_addc_u32 s1, s1, 0
	s_add_i32 s4, s4, -1
	v_sub_u32_e32 v9, v5, v9
	s_cmp_lg_u32 s4, 0
	v_mov_b32_e32 v5, v7
	v_mad_u64_u32 v[6:7], s[6:7], v9, s16, v[6:7]
	s_cbranch_scc1 .LBB11_78
.LBB11_79:                              ;   in Loop: Header=BB11_9 Depth=1
	s_cbranch_execnz .LBB11_7
.LBB11_80:                              ;   in Loop: Header=BB11_9 Depth=1
	v_mul_hi_u32 v5, v4, s10
	v_add_u32_e32 v5, v5, v4
	v_lshrrev_b32_e32 v5, s11, v5
	v_mul_lo_u32 v6, v5, s9
	v_sub_u32_e32 v4, v4, v6
	s_andn2_b64 vcc, exec, s[46:47]
	s_waitcnt lgkmcnt(0)
	v_mul_lo_u32 v6, v4, s48
	s_cbranch_vccnz .LBB11_7
; %bb.81:                               ;   in Loop: Header=BB11_9 Depth=1
	v_mul_hi_u32 v4, s8, v5
	v_add_u32_e32 v4, v5, v4
	v_lshrrev_b32_e32 v4, s14, v4
	v_mul_lo_u32 v4, v4, s12
	v_sub_u32_e32 v4, v5, v4
	v_mad_u64_u32 v[6:7], s[0:1], v4, s49, v[6:7]
	s_branch .LBB11_7
.LBB11_82:
	s_endpgm
.LBB11_83:
                                        ; implicit-def: $sgpr2_sgpr3
	s_andn2_b64 vcc, exec, s[0:1]
	s_cbranch_vccz .LBB11_4
	s_branch .LBB11_5
	.section	.rodata,"a",@progbits
	.p2align	6, 0x0
	.amdhsa_kernel _ZN2at6native12_GLOBAL__N_143distribution_elementwise_grid_stride_kernelIfLi4EZNS0_9templates4cuda20normal_and_transformIN3c104HalfEfPNS_17CUDAGeneratorImplEZZZNS4_13normal_kernelIS9_EEvRKNS_10TensorBaseEddT_ENKUlvE_clEvENKUlvE1_clEvEUlfE_EEvRNS_18TensorIteratorBaseET1_T2_EUlP25hiprandStatePhilox4_32_10E0_ZNS1_27distribution_nullary_kernelIS7_f15HIP_vector_typeIfLj4EES9_SO_SH_EEvSJ_SL_RKT3_T4_EUlifE0_EEvlNS_15PhiloxCudaStateESK_SL_
		.amdhsa_group_segment_fixed_size 0
		.amdhsa_private_segment_fixed_size 0
		.amdhsa_kernarg_size 584
		.amdhsa_user_sgpr_count 6
		.amdhsa_user_sgpr_private_segment_buffer 1
		.amdhsa_user_sgpr_dispatch_ptr 0
		.amdhsa_user_sgpr_queue_ptr 0
		.amdhsa_user_sgpr_kernarg_segment_ptr 1
		.amdhsa_user_sgpr_dispatch_id 0
		.amdhsa_user_sgpr_flat_scratch_init 0
		.amdhsa_user_sgpr_kernarg_preload_length 0
		.amdhsa_user_sgpr_kernarg_preload_offset 0
		.amdhsa_user_sgpr_private_segment_size 0
		.amdhsa_uses_dynamic_stack 0
		.amdhsa_system_sgpr_private_segment_wavefront_offset 0
		.amdhsa_system_sgpr_workgroup_id_x 1
		.amdhsa_system_sgpr_workgroup_id_y 0
		.amdhsa_system_sgpr_workgroup_id_z 0
		.amdhsa_system_sgpr_workgroup_info 0
		.amdhsa_system_vgpr_workitem_id 0
		.amdhsa_next_free_vgpr 45
		.amdhsa_next_free_sgpr 73
		.amdhsa_accum_offset 48
		.amdhsa_reserve_vcc 1
		.amdhsa_reserve_flat_scratch 0
		.amdhsa_float_round_mode_32 0
		.amdhsa_float_round_mode_16_64 0
		.amdhsa_float_denorm_mode_32 3
		.amdhsa_float_denorm_mode_16_64 3
		.amdhsa_dx10_clamp 1
		.amdhsa_ieee_mode 1
		.amdhsa_fp16_overflow 0
		.amdhsa_tg_split 0
		.amdhsa_exception_fp_ieee_invalid_op 0
		.amdhsa_exception_fp_denorm_src 0
		.amdhsa_exception_fp_ieee_div_zero 0
		.amdhsa_exception_fp_ieee_overflow 0
		.amdhsa_exception_fp_ieee_underflow 0
		.amdhsa_exception_fp_ieee_inexact 0
		.amdhsa_exception_int_div_zero 0
	.end_amdhsa_kernel
	.section	.text._ZN2at6native12_GLOBAL__N_143distribution_elementwise_grid_stride_kernelIfLi4EZNS0_9templates4cuda20normal_and_transformIN3c104HalfEfPNS_17CUDAGeneratorImplEZZZNS4_13normal_kernelIS9_EEvRKNS_10TensorBaseEddT_ENKUlvE_clEvENKUlvE1_clEvEUlfE_EEvRNS_18TensorIteratorBaseET1_T2_EUlP25hiprandStatePhilox4_32_10E0_ZNS1_27distribution_nullary_kernelIS7_f15HIP_vector_typeIfLj4EES9_SO_SH_EEvSJ_SL_RKT3_T4_EUlifE0_EEvlNS_15PhiloxCudaStateESK_SL_,"axG",@progbits,_ZN2at6native12_GLOBAL__N_143distribution_elementwise_grid_stride_kernelIfLi4EZNS0_9templates4cuda20normal_and_transformIN3c104HalfEfPNS_17CUDAGeneratorImplEZZZNS4_13normal_kernelIS9_EEvRKNS_10TensorBaseEddT_ENKUlvE_clEvENKUlvE1_clEvEUlfE_EEvRNS_18TensorIteratorBaseET1_T2_EUlP25hiprandStatePhilox4_32_10E0_ZNS1_27distribution_nullary_kernelIS7_f15HIP_vector_typeIfLj4EES9_SO_SH_EEvSJ_SL_RKT3_T4_EUlifE0_EEvlNS_15PhiloxCudaStateESK_SL_,comdat
.Lfunc_end11:
	.size	_ZN2at6native12_GLOBAL__N_143distribution_elementwise_grid_stride_kernelIfLi4EZNS0_9templates4cuda20normal_and_transformIN3c104HalfEfPNS_17CUDAGeneratorImplEZZZNS4_13normal_kernelIS9_EEvRKNS_10TensorBaseEddT_ENKUlvE_clEvENKUlvE1_clEvEUlfE_EEvRNS_18TensorIteratorBaseET1_T2_EUlP25hiprandStatePhilox4_32_10E0_ZNS1_27distribution_nullary_kernelIS7_f15HIP_vector_typeIfLj4EES9_SO_SH_EEvSJ_SL_RKT3_T4_EUlifE0_EEvlNS_15PhiloxCudaStateESK_SL_, .Lfunc_end11-_ZN2at6native12_GLOBAL__N_143distribution_elementwise_grid_stride_kernelIfLi4EZNS0_9templates4cuda20normal_and_transformIN3c104HalfEfPNS_17CUDAGeneratorImplEZZZNS4_13normal_kernelIS9_EEvRKNS_10TensorBaseEddT_ENKUlvE_clEvENKUlvE1_clEvEUlfE_EEvRNS_18TensorIteratorBaseET1_T2_EUlP25hiprandStatePhilox4_32_10E0_ZNS1_27distribution_nullary_kernelIS7_f15HIP_vector_typeIfLj4EES9_SO_SH_EEvSJ_SL_RKT3_T4_EUlifE0_EEvlNS_15PhiloxCudaStateESK_SL_
                                        ; -- End function
	.section	.AMDGPU.csdata,"",@progbits
; Kernel info:
; codeLenInByte = 4892
; NumSgprs: 77
; NumVgprs: 45
; NumAgprs: 0
; TotalNumVgprs: 45
; ScratchSize: 0
; MemoryBound: 0
; FloatMode: 240
; IeeeMode: 1
; LDSByteSize: 0 bytes/workgroup (compile time only)
; SGPRBlocks: 9
; VGPRBlocks: 5
; NumSGPRsForWavesPerEU: 77
; NumVGPRsForWavesPerEU: 45
; AccumOffset: 48
; Occupancy: 8
; WaveLimiterHint : 1
; COMPUTE_PGM_RSRC2:SCRATCH_EN: 0
; COMPUTE_PGM_RSRC2:USER_SGPR: 6
; COMPUTE_PGM_RSRC2:TRAP_HANDLER: 0
; COMPUTE_PGM_RSRC2:TGID_X_EN: 1
; COMPUTE_PGM_RSRC2:TGID_Y_EN: 0
; COMPUTE_PGM_RSRC2:TGID_Z_EN: 0
; COMPUTE_PGM_RSRC2:TIDIG_COMP_CNT: 0
; COMPUTE_PGM_RSRC3_GFX90A:ACCUM_OFFSET: 11
; COMPUTE_PGM_RSRC3_GFX90A:TG_SPLIT: 0
	.section	.text._ZN2at6native12_GLOBAL__N_143distribution_elementwise_grid_stride_kernelIfLi4EZNS0_9templates4cuda20normal_and_transformIN3c108BFloat16EfPNS_17CUDAGeneratorImplEZZZNS4_13normal_kernelIS9_EEvRKNS_10TensorBaseEddT_ENKUlvE_clEvENKUlvE2_clEvEUlfE_EEvRNS_18TensorIteratorBaseET1_T2_EUlP25hiprandStatePhilox4_32_10E_ZNS1_27distribution_nullary_kernelIS7_f15HIP_vector_typeIdLj2EES9_SO_SH_EEvSJ_SL_RKT3_T4_EUlifE_EEvlNS_15PhiloxCudaStateESK_SL_,"axG",@progbits,_ZN2at6native12_GLOBAL__N_143distribution_elementwise_grid_stride_kernelIfLi4EZNS0_9templates4cuda20normal_and_transformIN3c108BFloat16EfPNS_17CUDAGeneratorImplEZZZNS4_13normal_kernelIS9_EEvRKNS_10TensorBaseEddT_ENKUlvE_clEvENKUlvE2_clEvEUlfE_EEvRNS_18TensorIteratorBaseET1_T2_EUlP25hiprandStatePhilox4_32_10E_ZNS1_27distribution_nullary_kernelIS7_f15HIP_vector_typeIdLj2EES9_SO_SH_EEvSJ_SL_RKT3_T4_EUlifE_EEvlNS_15PhiloxCudaStateESK_SL_,comdat
	.globl	_ZN2at6native12_GLOBAL__N_143distribution_elementwise_grid_stride_kernelIfLi4EZNS0_9templates4cuda20normal_and_transformIN3c108BFloat16EfPNS_17CUDAGeneratorImplEZZZNS4_13normal_kernelIS9_EEvRKNS_10TensorBaseEddT_ENKUlvE_clEvENKUlvE2_clEvEUlfE_EEvRNS_18TensorIteratorBaseET1_T2_EUlP25hiprandStatePhilox4_32_10E_ZNS1_27distribution_nullary_kernelIS7_f15HIP_vector_typeIdLj2EES9_SO_SH_EEvSJ_SL_RKT3_T4_EUlifE_EEvlNS_15PhiloxCudaStateESK_SL_ ; -- Begin function _ZN2at6native12_GLOBAL__N_143distribution_elementwise_grid_stride_kernelIfLi4EZNS0_9templates4cuda20normal_and_transformIN3c108BFloat16EfPNS_17CUDAGeneratorImplEZZZNS4_13normal_kernelIS9_EEvRKNS_10TensorBaseEddT_ENKUlvE_clEvENKUlvE2_clEvEUlfE_EEvRNS_18TensorIteratorBaseET1_T2_EUlP25hiprandStatePhilox4_32_10E_ZNS1_27distribution_nullary_kernelIS7_f15HIP_vector_typeIdLj2EES9_SO_SH_EEvSJ_SL_RKT3_T4_EUlifE_EEvlNS_15PhiloxCudaStateESK_SL_
	.p2align	8
	.type	_ZN2at6native12_GLOBAL__N_143distribution_elementwise_grid_stride_kernelIfLi4EZNS0_9templates4cuda20normal_and_transformIN3c108BFloat16EfPNS_17CUDAGeneratorImplEZZZNS4_13normal_kernelIS9_EEvRKNS_10TensorBaseEddT_ENKUlvE_clEvENKUlvE2_clEvEUlfE_EEvRNS_18TensorIteratorBaseET1_T2_EUlP25hiprandStatePhilox4_32_10E_ZNS1_27distribution_nullary_kernelIS7_f15HIP_vector_typeIdLj2EES9_SO_SH_EEvSJ_SL_RKT3_T4_EUlifE_EEvlNS_15PhiloxCudaStateESK_SL_,@function
_ZN2at6native12_GLOBAL__N_143distribution_elementwise_grid_stride_kernelIfLi4EZNS0_9templates4cuda20normal_and_transformIN3c108BFloat16EfPNS_17CUDAGeneratorImplEZZZNS4_13normal_kernelIS9_EEvRKNS_10TensorBaseEddT_ENKUlvE_clEvENKUlvE2_clEvEUlfE_EEvRNS_18TensorIteratorBaseET1_T2_EUlP25hiprandStatePhilox4_32_10E_ZNS1_27distribution_nullary_kernelIS7_f15HIP_vector_typeIdLj2EES9_SO_SH_EEvSJ_SL_RKT3_T4_EUlifE_EEvlNS_15PhiloxCudaStateESK_SL_: ; @_ZN2at6native12_GLOBAL__N_143distribution_elementwise_grid_stride_kernelIfLi4EZNS0_9templates4cuda20normal_and_transformIN3c108BFloat16EfPNS_17CUDAGeneratorImplEZZZNS4_13normal_kernelIS9_EEvRKNS_10TensorBaseEddT_ENKUlvE_clEvENKUlvE2_clEvEUlfE_EEvRNS_18TensorIteratorBaseET1_T2_EUlP25hiprandStatePhilox4_32_10E_ZNS1_27distribution_nullary_kernelIS7_f15HIP_vector_typeIdLj2EES9_SO_SH_EEvSJ_SL_RKT3_T4_EUlifE_EEvlNS_15PhiloxCudaStateESK_SL_
; %bb.0:
	s_load_dword s2, s[4:5], 0x20
	s_load_dwordx2 s[0:1], s[4:5], 0x10
	s_load_dwordx4 s[8:11], s[4:5], 0x0
	s_waitcnt lgkmcnt(0)
	s_bitcmp0_b32 s2, 0
	s_mov_b32 s2, 0
	v_pk_mov_b32 v[2:3], s[0:1], s[0:1] op_sel:[0,1]
	v_pk_mov_b32 v[12:13], s[10:11], s[10:11] op_sel:[0,1]
	s_cbranch_scc1 .LBB12_2
; %bb.1:
	v_pk_mov_b32 v[2:3], s[0:1], s[0:1] op_sel:[0,1]
	flat_load_dwordx2 v[2:3], v[2:3]
	v_pk_mov_b32 v[4:5], s[10:11], s[10:11] op_sel:[0,1]
	flat_load_dwordx2 v[12:13], v[4:5]
	s_load_dwordx2 s[0:1], s[4:5], 0x18
	s_waitcnt lgkmcnt(0)
	v_mov_b32_e32 v1, s1
	s_waitcnt vmcnt(0)
	v_add_co_u32_e32 v2, vcc, s0, v2
	v_addc_co_u32_e32 v3, vcc, v3, v1, vcc
.LBB12_2:
	s_load_dword s0, s[4:5], 0x54
	s_load_dword s18, s[4:5], 0x48
	s_waitcnt lgkmcnt(0)
	s_and_b32 s7, s0, 0xffff
	s_add_u32 s10, s8, -1
	s_mul_i32 s33, s18, s7
	s_addc_u32 s3, s9, -1
	s_lshl_b32 s38, s33, 2
	s_cmp_lg_u64 s[2:3], 0
	s_mov_b64 s[0:1], -1
	s_cbranch_scc0 .LBB12_23
; %bb.3:
	v_cvt_f32_u32_e32 v1, s38
	v_cvt_f32_ubyte0_e32 v4, 0
	s_sub_u32 s2, 0, s38
	s_subb_u32 s11, 0, 0
	v_madmk_f32 v1, v4, 0x4f800000, v1
	v_rcp_f32_e32 v1, v1
	v_mul_f32_e32 v1, 0x5f7ffffc, v1
	v_mul_f32_e32 v4, 0x2f800000, v1
	v_trunc_f32_e32 v4, v4
	v_madmk_f32 v1, v4, 0xcf800000, v1
	v_cvt_u32_f32_e32 v4, v4
	v_cvt_u32_f32_e32 v1, v1
	v_readfirstlane_b32 s12, v4
	v_readfirstlane_b32 s13, v1
	s_mul_i32 s14, s2, s12
	s_mul_hi_u32 s16, s2, s13
	s_mul_i32 s15, s11, s13
	s_add_i32 s14, s16, s14
	s_add_i32 s14, s14, s15
	s_mul_i32 s17, s2, s13
	s_mul_hi_u32 s15, s13, s14
	s_mul_i32 s16, s13, s14
	s_mul_hi_u32 s13, s13, s17
	s_add_u32 s13, s13, s16
	s_addc_u32 s15, 0, s15
	s_mul_hi_u32 s19, s12, s17
	s_mul_i32 s17, s12, s17
	s_add_u32 s13, s13, s17
	s_mul_hi_u32 s16, s12, s14
	s_addc_u32 s13, s15, s19
	s_addc_u32 s15, s16, 0
	s_mul_i32 s14, s12, s14
	s_add_u32 s13, s13, s14
	s_addc_u32 s14, 0, s15
	v_add_co_u32_e32 v1, vcc, s13, v1
	s_cmp_lg_u64 vcc, 0
	s_addc_u32 s12, s12, s14
	v_readfirstlane_b32 s14, v1
	s_mul_i32 s13, s2, s12
	s_mul_hi_u32 s15, s2, s14
	s_add_i32 s13, s15, s13
	s_mul_i32 s11, s11, s14
	s_add_i32 s13, s13, s11
	s_mul_i32 s2, s2, s14
	s_mul_hi_u32 s15, s12, s2
	s_mul_i32 s16, s12, s2
	s_mul_i32 s19, s14, s13
	s_mul_hi_u32 s2, s14, s2
	s_mul_hi_u32 s17, s14, s13
	s_add_u32 s2, s2, s19
	s_addc_u32 s14, 0, s17
	s_add_u32 s2, s2, s16
	s_mul_hi_u32 s11, s12, s13
	s_addc_u32 s2, s14, s15
	s_addc_u32 s11, s11, 0
	s_mul_i32 s13, s12, s13
	s_add_u32 s2, s2, s13
	s_addc_u32 s11, 0, s11
	v_add_co_u32_e32 v1, vcc, s2, v1
	s_cmp_lg_u64 vcc, 0
	s_addc_u32 s11, s12, s11
	s_ashr_i32 s12, s3, 31
	s_add_u32 s2, s10, s12
	s_mov_b32 s13, s12
	s_addc_u32 s3, s3, s12
	s_xor_b64 s[2:3], s[2:3], s[12:13]
	v_readfirstlane_b32 s16, v1
	s_mul_i32 s15, s2, s11
	s_mul_hi_u32 s17, s2, s16
	s_mul_hi_u32 s14, s2, s11
	s_add_u32 s15, s17, s15
	s_addc_u32 s14, 0, s14
	s_mul_hi_u32 s19, s3, s16
	s_mul_i32 s16, s3, s16
	s_add_u32 s15, s15, s16
	s_mul_hi_u32 s17, s3, s11
	s_addc_u32 s14, s14, s19
	s_addc_u32 s15, s17, 0
	s_mul_i32 s11, s3, s11
	s_add_u32 s11, s14, s11
	s_addc_u32 s14, 0, s15
	s_add_u32 s15, s11, 1
	s_addc_u32 s16, s14, 0
	s_add_u32 s17, s11, 2
	s_mul_i32 s20, s38, s14
	s_mul_hi_u32 s21, s38, s11
	s_addc_u32 s19, s14, 0
	s_add_i32 s21, s21, s20
	s_mul_i32 s20, s38, s11
	v_mov_b32_e32 v1, s20
	v_sub_co_u32_e32 v1, vcc, s2, v1
	s_cmp_lg_u64 vcc, 0
	s_subb_u32 s2, s3, s21
	v_subrev_co_u32_e32 v4, vcc, s38, v1
	s_cmp_lg_u64 vcc, 0
	s_subb_u32 s3, s2, 0
	v_readfirstlane_b32 s20, v4
	s_cmp_ge_u32 s20, s38
	s_cselect_b32 s20, -1, 0
	s_cmp_eq_u32 s3, 0
	s_cselect_b32 s3, s20, -1
	s_cmp_lg_u32 s3, 0
	s_cselect_b32 s3, s19, s16
	v_readfirstlane_b32 s16, v1
	s_cselect_b32 s15, s17, s15
	s_cmp_ge_u32 s16, s38
	s_cselect_b32 s16, -1, 0
	s_cmp_eq_u32 s2, 0
	s_cselect_b32 s2, s16, -1
	s_cmp_lg_u32 s2, 0
	s_cselect_b32 s3, s3, s14
	s_cselect_b32 s2, s15, s11
	s_xor_b64 s[2:3], s[2:3], s[12:13]
	s_sub_u32 s2, s2, s12
	s_subb_u32 s3, s3, s12
	s_cbranch_execnz .LBB12_5
.LBB12_4:
	v_cvt_f32_u32_e32 v1, s38
	s_sub_i32 s0, 0, s38
	s_mov_b32 s3, 0
	v_rcp_iflag_f32_e32 v1, v1
	v_mul_f32_e32 v1, 0x4f7ffffe, v1
	v_cvt_u32_f32_e32 v1, v1
	v_readfirstlane_b32 s1, v1
	s_mul_i32 s0, s0, s1
	s_mul_hi_u32 s0, s1, s0
	s_add_i32 s1, s1, s0
	s_mul_hi_u32 s0, s10, s1
	s_mul_i32 s2, s0, s38
	s_sub_i32 s2, s10, s2
	s_add_i32 s1, s0, 1
	s_sub_i32 s10, s2, s38
	s_cmp_ge_u32 s2, s38
	s_cselect_b32 s0, s1, s0
	s_cselect_b32 s2, s10, s2
	s_add_i32 s1, s0, 1
	s_cmp_ge_u32 s2, s38
	s_cselect_b32 s2, s1, s0
.LBB12_5:
	v_mov_b32_e32 v1, 0
	v_mov_b32_e32 v4, s6
	v_mad_u64_u32 v[14:15], s[0:1], s7, v4, v[0:1]
	s_add_u32 s0, s2, 1
	s_addc_u32 s1, s3, 0
	s_mul_hi_u32 s2, s18, s7
	s_mul_i32 s1, s33, s1
	s_mul_hi_u32 s3, s33, s0
	s_add_i32 s1, s3, s1
	s_mul_i32 s2, s2, s0
	s_add_i32 s1, s1, s2
	s_mul_i32 s0, s33, s0
	s_lshl_b64 s[10:11], s[0:1], 2
	v_cmp_gt_i64_e32 vcc, s[10:11], v[14:15]
	s_and_saveexec_b64 s[0:1], vcc
	s_cbranch_execz .LBB12_22
; %bb.6:
	s_mov_b32 s0, 0x5384540f
	v_mov_b32_e32 v4, v13
	v_add_co_u32_e32 v58, vcc, s0, v12
	s_mov_b32 s0, 0x646e171e
	v_add_co_u32_e32 v59, vcc, s0, v4
	s_mov_b32 s0, 0x1715609d
	;; [unrolled: 2-line block ×6, first 2 shown]
	v_alignbit_b32 v65, v3, v2, 2
	s_mov_b32 s39, 0xd2511f53
	v_add_co_u32_e32 v64, vcc, s0, v12
	v_mad_u64_u32 v[6:7], s[0:1], v65, s39, 0
	v_and_b32_e32 v54, 3, v2
	v_xor_b32_e32 v2, v7, v13
	v_xor_b32_e32 v2, v2, v15
	s_mov_b32 s40, 0xcd9e8d57
	v_mad_u64_u32 v[8:9], s[0:1], v2, s40, 0
	v_xor_b32_e32 v2, v64, v9
	v_mad_u64_u32 v[10:11], s[0:1], v14, s40, 0
	v_xor_b32_e32 v2, v2, v10
	;; [unrolled: 2-line block ×3, first 2 shown]
	v_lshrrev_b32_e32 v66, 2, v3
	v_xor_b32_e32 v2, v2, v66
	v_xor_b32_e32 v5, v63, v17
	v_mad_u64_u32 v[2:3], s[0:1], v2, s39, 0
	v_xor_b32_e32 v2, v5, v2
	v_mad_u64_u32 v[10:11], s[0:1], v2, s40, 0
	s_mov_b32 s0, 0xbb67ae85
	v_add_co_u32_e32 v67, vcc, s0, v4
	v_xor_b32_e32 v2, v67, v3
	v_xor_b32_e32 v2, v2, v6
	v_xor_b32_e32 v5, v62, v11
	v_mad_u64_u32 v[2:3], s[0:1], v2, s40, 0
	v_xor_b32_e32 v2, v5, v2
	v_mad_u64_u32 v[6:7], s[0:1], v2, s39, 0
	s_mov_b32 s0, 0x3c6ef372
	v_add_co_u32_e32 v68, vcc, s0, v12
	v_xor_b32_e32 v2, v68, v3
	;; [unrolled: 8-line block ×6, first 2 shown]
	v_add_co_u32_e32 v57, vcc, 0xdb3d7428, v4
	v_xor_b32_e32 v2, v2, v8
	v_xor_b32_e32 v5, v57, v19
	v_mad_u64_u32 v[2:3], s[0:1], v2, s39, 0
	v_xor_b32_e32 v2, v5, v2
	v_mad_u64_u32 v[20:21], s[0:1], v2, s40, 0
	s_mov_b32 s0, 0x1fd5c5a3
	v_add_co_u32_e32 v73, vcc, s0, v4
	v_xor_b32_e32 v2, v73, v3
	v_xor_b32_e32 v2, v2, v16
	v_mad_u64_u32 v[2:3], s[0:1], v2, s40, 0
	s_mov_b32 s0, 0xf1bbcdc8
	v_add_u32_e32 v55, 0x8ff34781, v12
	v_xor_b32_e32 v2, v21, v2
	v_add_co_u32_e32 v74, vcc, s0, v12
	s_load_dwordx4 s[12:15], s[4:5], 0x38
	s_load_dwordx2 s[16:17], s[4:5], 0x30
	v_xor_b32_e32 v6, v55, v2
	v_xor_b32_e32 v2, v74, v3
	;; [unrolled: 1-line block ×3, first 2 shown]
	v_mad_u64_u32 v[2:3], s[0:1], v2, s39, 0
	s_mul_i32 s0, s6, s7
	v_mov_b32_e32 v9, v2
	v_add_u32_e32 v2, s0, v0
	s_waitcnt lgkmcnt(0)
	s_mul_i32 s0, s18, s12
	s_mul_i32 s0, s0, s7
	s_lshl_b32 s41, s0, 2
	s_add_i32 s0, s6, s18
	s_mul_i32 s0, s0, s7
	s_mov_b32 s15, 0
	v_add_u32_e32 v56, 0x96a522ad, v13
	v_xor_b32_e32 v3, v3, v18
	v_add_u32_e32 v0, s0, v0
	s_mov_b32 s6, 0x55555555
	s_mov_b32 s18, 0xbf559e2b
	;; [unrolled: 1-line block ×9, first 2 shown]
	v_xor_b32_e32 v8, v56, v3
	v_mov_b32_e32 v7, v20
	v_mul_lo_u32 v75, s12, v2
	v_mul_lo_u32 v76, s12, v0
	s_mov_b64 s[4:5], 0
	s_mov_b32 s7, 0x3fe55555
	s_mov_b32 s19, 0x3fc3ab76
	s_mov_b32 s21, 0x3fe62e42
	s_mov_b32 s23, 0x3c7abc9e
	s_mov_b32 s25, 0x7ff00000
	s_brev_b32 s27, 8
	s_mov_b32 s29, 0x3f3e357e
	s_mov_b32 s31, 0x400921fb
	;; [unrolled: 1-line block ×3, first 2 shown]
	s_movk_i32 s12, 0x7fff
	v_mov_b32_e32 v16, 0x6b47b09a
	v_mov_b32_e32 v17, 0x3fc38538
	;; [unrolled: 1-line block ×34, first 2 shown]
	s_mov_b32 s42, s15
	v_mov_b32_e32 v77, 0x260
	v_mov_b32_e32 v78, 0x7ff00000
	;; [unrolled: 1-line block ×7, first 2 shown]
	s_branch .LBB12_8
.LBB12_7:                               ;   in Loop: Header=BB12_8 Depth=1
	s_or_b64 exec, exec, s[36:37]
	v_add_co_u32_e32 v14, vcc, s38, v14
	v_mov_b32_e32 v5, v50
	v_addc_co_u32_e32 v15, vcc, 0, v15, vcc
	s_add_i32 s42, s42, s41
	v_cmp_le_i64_e32 vcc, s[10:11], v[14:15]
	v_pk_mov_b32 v[8:9], v[4:5], v[4:5] op_sel:[0,1]
	s_or_b64 s[4:5], vcc, s[4:5]
	v_pk_mov_b32 v[6:7], v[2:3], v[2:3] op_sel:[0,1]
	s_barrier
	s_andn2_b64 exec, exec, s[4:5]
	s_cbranch_execz .LBB12_22
.LBB12_8:                               ; =>This Inner Loop Header: Depth=1
	v_add_co_u32_e32 v65, vcc, 1, v65
	v_cndmask_b32_e64 v0, 0, 1, vcc
	v_addc_co_u32_e32 v66, vcc, 0, v66, vcc
	v_cmp_eq_u32_e32 vcc, 0, v66
	v_cndmask_b32_e32 v0, 0, v0, vcc
	v_add_u32_e32 v82, v0, v82
	v_cmp_eq_u32_e32 vcc, 0, v82
	v_cndmask_b32_e32 v0, 0, v0, vcc
	v_mad_u64_u32 v[2:3], s[0:1], v65, s39, 0
	v_mad_u64_u32 v[4:5], s[0:1], v82, s40, 0
	v_add_u32_e32 v83, v0, v83
	v_xor_b32_e32 v0, v5, v12
	v_xor_b32_e32 v3, v3, v13
	v_xor_b32_e32 v0, v66, v0
	v_xor_b32_e32 v3, v83, v3
	v_mad_u64_u32 v[10:11], s[0:1], v0, s39, 0
	v_mad_u64_u32 v[50:51], s[0:1], v3, s40, 0
	v_xor_b32_e32 v0, v64, v51
	v_xor_b32_e32 v3, v67, v11
	v_xor_b32_e32 v0, v0, v4
	v_xor_b32_e32 v4, v3, v2
	v_mad_u64_u32 v[2:3], s[0:1], v0, s39, 0
	v_mad_u64_u32 v[4:5], s[0:1], v4, s40, 0
	;; [unrolled: 6-line block ×9, first 2 shown]
	v_xor_b32_e32 v0, v11, v2
	v_xor_b32_e32 v2, v55, v0
	;; [unrolled: 1-line block ×4, first 2 shown]
	v_mov_b32_e32 v3, v10
	v_mov_b32_e32 v4, v11
	v_cmp_lt_i32_e32 vcc, 1, v54
	s_and_saveexec_b64 s[0:1], vcc
	s_xor_b64 s[0:1], exec, s[0:1]
	s_cbranch_execz .LBB12_14
; %bb.9:                                ;   in Loop: Header=BB12_8 Depth=1
	v_cmp_lt_i32_e32 vcc, 2, v54
	s_and_saveexec_b64 s[2:3], vcc
	s_xor_b64 s[2:3], exec, s[2:3]
; %bb.10:                               ;   in Loop: Header=BB12_8 Depth=1
	v_mov_b32_e32 v8, v9
	v_mov_b32_e32 v9, v2
	v_pk_mov_b32 v[6:7], v[8:9], v[8:9] op_sel:[0,1]
	v_pk_mov_b32 v[8:9], v[10:11], v[10:11] op_sel:[0,1]
                                        ; implicit-def: $vgpr10_vgpr11
; %bb.11:                               ;   in Loop: Header=BB12_8 Depth=1
	s_andn2_saveexec_b64 s[2:3], s[2:3]
; %bb.12:                               ;   in Loop: Header=BB12_8 Depth=1
	v_mov_b32_e32 v6, v8
	v_mov_b32_e32 v7, v9
	;; [unrolled: 1-line block ×4, first 2 shown]
; %bb.13:                               ;   in Loop: Header=BB12_8 Depth=1
	s_or_b64 exec, exec, s[2:3]
.LBB12_14:                              ;   in Loop: Header=BB12_8 Depth=1
	s_andn2_saveexec_b64 s[0:1], s[0:1]
	s_cbranch_execz .LBB12_18
; %bb.15:                               ;   in Loop: Header=BB12_8 Depth=1
	v_cmp_eq_u32_e32 vcc, 1, v54
	s_and_saveexec_b64 s[2:3], vcc
; %bb.16:                               ;   in Loop: Header=BB12_8 Depth=1
	v_mov_b32_e32 v6, v7
	v_mov_b32_e32 v7, v8
	;; [unrolled: 1-line block ×4, first 2 shown]
; %bb.17:                               ;   in Loop: Header=BB12_8 Depth=1
	s_or_b64 exec, exec, s[2:3]
.LBB12_18:                              ;   in Loop: Header=BB12_8 Depth=1
	s_or_b64 exec, exec, s[0:1]
	v_mov_b32_e32 v0, v7
	v_lshlrev_b64 v[10:11], 21, v[0:1]
	v_xor_b32_e32 v0, v10, v6
	v_cvt_f64_u32_e32 v[6:7], v11
	v_ldexp_f64 v[6:7], v[6:7], 32
	v_cvt_f64_u32_e32 v[10:11], v0
	v_add_f64 v[6:7], v[6:7], v[10:11]
	v_mov_b32_e32 v10, 0
	v_mov_b32_e32 v11, 0x3ca00000
	;; [unrolled: 1-line block ×3, first 2 shown]
	v_fmac_f64_e32 v[10:11], 0x3ca00000, v[6:7]
	v_lshlrev_b64 v[6:7], 21, v[0:1]
	v_xor_b32_e32 v0, v6, v8
	v_cvt_f64_u32_e32 v[6:7], v7
	v_ldexp_f64 v[6:7], v[6:7], 32
	v_cvt_f64_u32_e32 v[8:9], v0
	v_add_f64 v[8:9], v[6:7], v[8:9]
	v_mov_b32_e32 v6, 0
	v_mov_b32_e32 v7, 0x3cb00000
	v_fmac_f64_e32 v[6:7], 0x3cb00000, v[8:9]
	v_frexp_mant_f64_e32 v[8:9], v[10:11]
	v_cmp_gt_f64_e32 vcc, s[6:7], v[8:9]
	v_mov_b32_e32 v5, 0x3ff00000
	v_cndmask_b32_e64 v53, v5, 2.0, vcc
	v_mov_b32_e32 v52, v1
	v_mul_f64 v[8:9], v[8:9], v[52:53]
	v_add_f64 v[84:85], v[8:9], 1.0
	v_add_f64 v[86:87], v[84:85], -1.0
	v_add_f64 v[52:53], v[8:9], -1.0
	v_add_f64 v[8:9], v[8:9], -v[86:87]
	v_rcp_f64_e32 v[86:87], v[84:85]
	v_frexp_exp_i32_f64_e32 v0, v[10:11]
	v_subbrev_co_u32_e32 v0, vcc, 0, v0, vcc
	v_fma_f64 v[88:89], -v[84:85], v[86:87], 1.0
	v_fmac_f64_e32 v[86:87], v[88:89], v[86:87]
	v_fma_f64 v[88:89], -v[84:85], v[86:87], 1.0
	v_fmac_f64_e32 v[86:87], v[88:89], v[86:87]
	v_mul_f64 v[88:89], v[52:53], v[86:87]
	v_mul_f64 v[90:91], v[84:85], v[88:89]
	v_fma_f64 v[84:85], v[88:89], v[84:85], -v[90:91]
	v_fmac_f64_e32 v[84:85], v[88:89], v[8:9]
	v_add_f64 v[8:9], v[90:91], v[84:85]
	v_add_f64 v[92:93], v[52:53], -v[8:9]
	v_add_f64 v[90:91], v[8:9], -v[90:91]
	;; [unrolled: 1-line block ×5, first 2 shown]
	v_add_f64 v[8:9], v[52:53], v[8:9]
	v_add_f64 v[8:9], v[92:93], v[8:9]
	v_mul_f64 v[8:9], v[86:87], v[8:9]
	v_add_f64 v[52:53], v[88:89], v[8:9]
	v_add_f64 v[84:85], v[52:53], -v[88:89]
	v_add_f64 v[8:9], v[8:9], -v[84:85]
	v_mul_f64 v[84:85], v[52:53], v[52:53]
	v_pk_mov_b32 v[86:87], v[16:17], v[16:17] op_sel:[0,1]
	v_fmac_f64_e32 v[86:87], s[18:19], v[84:85]
	v_pk_mov_b32 v[88:89], v[18:19], v[18:19] op_sel:[0,1]
	v_fmac_f64_e32 v[88:89], v[84:85], v[86:87]
	;; [unrolled: 2-line block ×6, first 2 shown]
	v_ldexp_f64 v[86:87], v[52:53], 1
	v_mul_f64 v[52:53], v[52:53], v[84:85]
	v_mul_f64 v[52:53], v[52:53], v[88:89]
	v_add_f64 v[84:85], v[86:87], v[52:53]
	v_add_f64 v[86:87], v[84:85], -v[86:87]
	v_ldexp_f64 v[8:9], v[8:9], 1
	v_add_f64 v[52:53], v[52:53], -v[86:87]
	v_add_f64 v[8:9], v[8:9], v[52:53]
	v_add_f64 v[52:53], v[84:85], v[8:9]
	v_add_f64 v[84:85], v[52:53], -v[84:85]
	v_add_f64 v[8:9], v[8:9], -v[84:85]
	v_cvt_f64_i32_e32 v[84:85], v0
	v_mul_f64 v[86:87], v[84:85], s[20:21]
	v_fma_f64 v[88:89], v[84:85], s[20:21], -v[86:87]
	v_fmac_f64_e32 v[88:89], s[22:23], v[84:85]
	v_add_f64 v[84:85], v[86:87], v[88:89]
	v_add_f64 v[86:87], v[84:85], -v[86:87]
	v_add_f64 v[86:87], v[88:89], -v[86:87]
	v_add_f64 v[88:89], v[84:85], v[52:53]
	v_add_f64 v[90:91], v[88:89], -v[84:85]
	v_add_f64 v[92:93], v[88:89], -v[90:91]
	;; [unrolled: 1-line block ×4, first 2 shown]
	v_add_f64 v[52:53], v[52:53], v[84:85]
	v_add_f64 v[84:85], v[86:87], v[8:9]
	v_add_f64 v[90:91], v[84:85], -v[86:87]
	v_add_f64 v[92:93], v[84:85], -v[90:91]
	v_add_f64 v[52:53], v[84:85], v[52:53]
	v_add_f64 v[86:87], v[86:87], -v[92:93]
	v_add_f64 v[8:9], v[8:9], -v[90:91]
	v_add_f64 v[84:85], v[88:89], v[52:53]
	v_add_f64 v[8:9], v[8:9], v[86:87]
	v_add_f64 v[86:87], v[84:85], -v[88:89]
	v_add_f64 v[52:53], v[52:53], -v[86:87]
	v_add_f64 v[8:9], v[8:9], v[52:53]
	v_add_f64 v[8:9], v[84:85], v[8:9]
	v_cmp_eq_f64_e32 vcc, s[24:25], v[10:11]
	v_cndmask_b32_e32 v9, v9, v11, vcc
	v_cndmask_b32_e32 v8, v8, v10, vcc
	v_mul_f64 v[8:9], v[8:9], -2.0
	v_cmp_neq_f64_e32 vcc, 0, v[10:11]
	v_cndmask_b32_e32 v9, v78, v9, vcc
	v_cndmask_b32_e32 v8, 0, v8, vcc
	v_cmp_gt_f64_e32 vcc, s[26:27], v[8:9]
	v_cndmask_b32_e64 v0, 0, 1, vcc
	v_lshlrev_b32_e32 v0, 8, v0
	v_ldexp_f64 v[8:9], v[8:9], v0
	v_rsq_f64_e32 v[10:11], v[8:9]
	v_cndmask_b32_e32 v0, 0, v79, vcc
	v_cmp_class_f64_e32 vcc, v[8:9], v77
	v_cmp_gt_i64_e64 s[2:3], s[8:9], v[14:15]
	v_mul_f64 v[52:53], v[8:9], v[10:11]
	v_mul_f64 v[10:11], v[10:11], 0.5
	v_fma_f64 v[84:85], -v[10:11], v[52:53], 0.5
	v_fmac_f64_e32 v[52:53], v[52:53], v[84:85]
	v_fma_f64 v[86:87], -v[52:53], v[52:53], v[8:9]
	v_fmac_f64_e32 v[10:11], v[10:11], v[84:85]
	v_fmac_f64_e32 v[52:53], v[86:87], v[10:11]
	v_fma_f64 v[84:85], -v[52:53], v[52:53], v[8:9]
	v_fmac_f64_e32 v[52:53], v[84:85], v[10:11]
	v_ldexp_f64 v[10:11], v[52:53], v0
	v_cndmask_b32_e32 v9, v11, v9, vcc
	v_cndmask_b32_e32 v8, v10, v8, vcc
	v_mul_f64 v[10:11], v[6:7], 0.5
	v_fract_f64_e32 v[52:53], v[10:11]
	v_add_f64 v[52:53], v[52:53], v[52:53]
	v_cmp_neq_f64_e32 vcc, s[24:25], v[10:11]
	v_cndmask_b32_e32 v0, 0, v52, vcc
	v_cndmask_b32_e32 v5, 0, v53, vcc
	v_cmp_lt_f64_e32 vcc, 1.0, v[6:7]
	v_cndmask_b32_e32 v53, v7, v5, vcc
	v_cndmask_b32_e32 v52, v6, v0, vcc
	v_add_f64 v[10:11], v[52:53], v[52:53]
	v_rndne_f64_e32 v[10:11], v[10:11]
	v_fmac_f64_e32 v[52:53], -0.5, v[10:11]
	v_cvt_i32_f64_e32 v5, v[10:11]
	v_mul_f64 v[84:85], v[52:53], v[52:53]
	v_pk_mov_b32 v[10:11], v[28:29], v[28:29] op_sel:[0,1]
	v_fmac_f64_e32 v[10:11], s[28:29], v[84:85]
	v_pk_mov_b32 v[86:87], v[30:31], v[30:31] op_sel:[0,1]
	v_fmac_f64_e32 v[86:87], v[84:85], v[10:11]
	;; [unrolled: 2-line block ×5, first 2 shown]
	v_mul_f64 v[86:87], v[52:53], v[84:85]
	v_mul_f64 v[10:11], v[86:87], v[10:11]
	v_fmac_f64_e32 v[10:11], s[30:31], v[52:53]
	v_pk_mov_b32 v[52:53], v[38:39], v[38:39] op_sel:[0,1]
	v_fmac_f64_e32 v[52:53], s[34:35], v[84:85]
	v_pk_mov_b32 v[86:87], v[40:41], v[40:41] op_sel:[0,1]
	;; [unrolled: 2-line block ×6, first 2 shown]
	v_fmac_f64_e32 v[86:87], v[84:85], v[52:53]
	v_lshlrev_b32_e32 v0, 30, v5
	v_and_b32_e32 v5, 1, v5
	v_fma_f64 v[52:53], v[84:85], v[86:87], 1.0
	v_cmp_eq_u32_e64 s[0:1], 0, v5
	v_cmp_lg_f64_e32 vcc, s[24:25], v[6:7]
	s_and_saveexec_b64 s[36:37], s[2:3]
	s_cbranch_execz .LBB12_20
; %bb.19:                               ;   in Loop: Header=BB12_8 Depth=1
	v_xor_b32_e32 v7, v0, v7
	v_cndmask_b32_e64 v6, v53, v11, s[0:1]
	v_and_b32_e32 v7, 0x80000000, v7
	v_cndmask_b32_e64 v5, v52, v10, s[0:1]
	v_xor_b32_e32 v7, v6, v7
	v_cndmask_b32_e32 v6, 0, v5, vcc
	v_cndmask_b32_e32 v7, v80, v7, vcc
	v_mul_f64 v[6:7], v[8:9], v[6:7]
	v_cvt_f32_f64_e32 v5, v[6:7]
	v_add_u32_e32 v6, s42, v75
	v_ashrrev_i32_e32 v7, 31, v6
	v_mov_b32_e32 v51, s17
	v_add_co_u32_e64 v6, s[2:3], s16, v6
	v_addc_co_u32_e64 v7, s[2:3], v51, v7, s[2:3]
	v_mov_b32_e32 v51, s13
	v_fma_f32 v5, s14, v5, v51
	v_bfe_u32 v51, v5, 16, 1
	v_add3_u32 v51, v5, v51, s12
	v_lshrrev_b32_e32 v51, 16, v51
	v_cmp_o_f32_e64 s[2:3], v5, v5
	v_cndmask_b32_e64 v5, v81, v51, s[2:3]
	global_store_short v[6:7], v5, off
.LBB12_20:                              ;   in Loop: Header=BB12_8 Depth=1
	s_or_b64 exec, exec, s[36:37]
	v_mov_b32_e32 v5, s15
	v_add_co_u32_e64 v6, s[2:3], s33, v14
	v_addc_co_u32_e64 v7, s[2:3], v5, v15, s[2:3]
	v_cmp_gt_i64_e64 s[2:3], s[8:9], v[6:7]
	s_and_saveexec_b64 s[36:37], s[2:3]
	s_cbranch_execz .LBB12_7
; %bb.21:                               ;   in Loop: Header=BB12_8 Depth=1
	v_xor_b32_e32 v5, 0x80000000, v11
	v_and_b32_e32 v0, 0x80000000, v0
	v_cndmask_b32_e64 v5, v5, v53, s[0:1]
	v_cndmask_b32_e64 v6, v10, v52, s[0:1]
	v_xor_b32_e32 v0, v5, v0
	v_cndmask_b32_e32 v7, v80, v0, vcc
	v_cndmask_b32_e32 v6, 0, v6, vcc
	v_mul_f64 v[6:7], v[8:9], v[6:7]
	v_add_u32_e32 v5, s42, v76
	v_cvt_f32_f64_e32 v0, v[6:7]
	v_ashrrev_i32_e32 v7, 31, v5
	v_add_co_u32_e32 v6, vcc, s16, v5
	v_mov_b32_e32 v5, s13
	v_fma_f32 v0, s14, v0, v5
	v_mov_b32_e32 v8, s17
	v_bfe_u32 v5, v0, 16, 1
	v_addc_co_u32_e32 v7, vcc, v8, v7, vcc
	v_add3_u32 v5, v0, v5, s12
	v_lshrrev_b32_e32 v5, 16, v5
	v_cmp_o_f32_e32 vcc, v0, v0
	v_cndmask_b32_e32 v0, v81, v5, vcc
	global_store_short v[6:7], v0, off
	s_branch .LBB12_7
.LBB12_22:
	s_endpgm
.LBB12_23:
                                        ; implicit-def: $sgpr2_sgpr3
	s_andn2_b64 vcc, exec, s[0:1]
	s_cbranch_vccz .LBB12_4
	s_branch .LBB12_5
	.section	.rodata,"a",@progbits
	.p2align	6, 0x0
	.amdhsa_kernel _ZN2at6native12_GLOBAL__N_143distribution_elementwise_grid_stride_kernelIfLi4EZNS0_9templates4cuda20normal_and_transformIN3c108BFloat16EfPNS_17CUDAGeneratorImplEZZZNS4_13normal_kernelIS9_EEvRKNS_10TensorBaseEddT_ENKUlvE_clEvENKUlvE2_clEvEUlfE_EEvRNS_18TensorIteratorBaseET1_T2_EUlP25hiprandStatePhilox4_32_10E_ZNS1_27distribution_nullary_kernelIS7_f15HIP_vector_typeIdLj2EES9_SO_SH_EEvSJ_SL_RKT3_T4_EUlifE_EEvlNS_15PhiloxCudaStateESK_SL_
		.amdhsa_group_segment_fixed_size 0
		.amdhsa_private_segment_fixed_size 0
		.amdhsa_kernarg_size 328
		.amdhsa_user_sgpr_count 6
		.amdhsa_user_sgpr_private_segment_buffer 1
		.amdhsa_user_sgpr_dispatch_ptr 0
		.amdhsa_user_sgpr_queue_ptr 0
		.amdhsa_user_sgpr_kernarg_segment_ptr 1
		.amdhsa_user_sgpr_dispatch_id 0
		.amdhsa_user_sgpr_flat_scratch_init 0
		.amdhsa_user_sgpr_kernarg_preload_length 0
		.amdhsa_user_sgpr_kernarg_preload_offset 0
		.amdhsa_user_sgpr_private_segment_size 0
		.amdhsa_uses_dynamic_stack 0
		.amdhsa_system_sgpr_private_segment_wavefront_offset 0
		.amdhsa_system_sgpr_workgroup_id_x 1
		.amdhsa_system_sgpr_workgroup_id_y 0
		.amdhsa_system_sgpr_workgroup_id_z 0
		.amdhsa_system_sgpr_workgroup_info 0
		.amdhsa_system_vgpr_workitem_id 0
		.amdhsa_next_free_vgpr 94
		.amdhsa_next_free_sgpr 43
		.amdhsa_accum_offset 96
		.amdhsa_reserve_vcc 1
		.amdhsa_reserve_flat_scratch 0
		.amdhsa_float_round_mode_32 0
		.amdhsa_float_round_mode_16_64 0
		.amdhsa_float_denorm_mode_32 3
		.amdhsa_float_denorm_mode_16_64 3
		.amdhsa_dx10_clamp 1
		.amdhsa_ieee_mode 1
		.amdhsa_fp16_overflow 0
		.amdhsa_tg_split 0
		.amdhsa_exception_fp_ieee_invalid_op 0
		.amdhsa_exception_fp_denorm_src 0
		.amdhsa_exception_fp_ieee_div_zero 0
		.amdhsa_exception_fp_ieee_overflow 0
		.amdhsa_exception_fp_ieee_underflow 0
		.amdhsa_exception_fp_ieee_inexact 0
		.amdhsa_exception_int_div_zero 0
	.end_amdhsa_kernel
	.section	.text._ZN2at6native12_GLOBAL__N_143distribution_elementwise_grid_stride_kernelIfLi4EZNS0_9templates4cuda20normal_and_transformIN3c108BFloat16EfPNS_17CUDAGeneratorImplEZZZNS4_13normal_kernelIS9_EEvRKNS_10TensorBaseEddT_ENKUlvE_clEvENKUlvE2_clEvEUlfE_EEvRNS_18TensorIteratorBaseET1_T2_EUlP25hiprandStatePhilox4_32_10E_ZNS1_27distribution_nullary_kernelIS7_f15HIP_vector_typeIdLj2EES9_SO_SH_EEvSJ_SL_RKT3_T4_EUlifE_EEvlNS_15PhiloxCudaStateESK_SL_,"axG",@progbits,_ZN2at6native12_GLOBAL__N_143distribution_elementwise_grid_stride_kernelIfLi4EZNS0_9templates4cuda20normal_and_transformIN3c108BFloat16EfPNS_17CUDAGeneratorImplEZZZNS4_13normal_kernelIS9_EEvRKNS_10TensorBaseEddT_ENKUlvE_clEvENKUlvE2_clEvEUlfE_EEvRNS_18TensorIteratorBaseET1_T2_EUlP25hiprandStatePhilox4_32_10E_ZNS1_27distribution_nullary_kernelIS7_f15HIP_vector_typeIdLj2EES9_SO_SH_EEvSJ_SL_RKT3_T4_EUlifE_EEvlNS_15PhiloxCudaStateESK_SL_,comdat
.Lfunc_end12:
	.size	_ZN2at6native12_GLOBAL__N_143distribution_elementwise_grid_stride_kernelIfLi4EZNS0_9templates4cuda20normal_and_transformIN3c108BFloat16EfPNS_17CUDAGeneratorImplEZZZNS4_13normal_kernelIS9_EEvRKNS_10TensorBaseEddT_ENKUlvE_clEvENKUlvE2_clEvEUlfE_EEvRNS_18TensorIteratorBaseET1_T2_EUlP25hiprandStatePhilox4_32_10E_ZNS1_27distribution_nullary_kernelIS7_f15HIP_vector_typeIdLj2EES9_SO_SH_EEvSJ_SL_RKT3_T4_EUlifE_EEvlNS_15PhiloxCudaStateESK_SL_, .Lfunc_end12-_ZN2at6native12_GLOBAL__N_143distribution_elementwise_grid_stride_kernelIfLi4EZNS0_9templates4cuda20normal_and_transformIN3c108BFloat16EfPNS_17CUDAGeneratorImplEZZZNS4_13normal_kernelIS9_EEvRKNS_10TensorBaseEddT_ENKUlvE_clEvENKUlvE2_clEvEUlfE_EEvRNS_18TensorIteratorBaseET1_T2_EUlP25hiprandStatePhilox4_32_10E_ZNS1_27distribution_nullary_kernelIS7_f15HIP_vector_typeIdLj2EES9_SO_SH_EEvSJ_SL_RKT3_T4_EUlifE_EEvlNS_15PhiloxCudaStateESK_SL_
                                        ; -- End function
	.section	.AMDGPU.csdata,"",@progbits
; Kernel info:
; codeLenInByte = 3900
; NumSgprs: 47
; NumVgprs: 94
; NumAgprs: 0
; TotalNumVgprs: 94
; ScratchSize: 0
; MemoryBound: 0
; FloatMode: 240
; IeeeMode: 1
; LDSByteSize: 0 bytes/workgroup (compile time only)
; SGPRBlocks: 5
; VGPRBlocks: 11
; NumSGPRsForWavesPerEU: 47
; NumVGPRsForWavesPerEU: 94
; AccumOffset: 96
; Occupancy: 5
; WaveLimiterHint : 0
; COMPUTE_PGM_RSRC2:SCRATCH_EN: 0
; COMPUTE_PGM_RSRC2:USER_SGPR: 6
; COMPUTE_PGM_RSRC2:TRAP_HANDLER: 0
; COMPUTE_PGM_RSRC2:TGID_X_EN: 1
; COMPUTE_PGM_RSRC2:TGID_Y_EN: 0
; COMPUTE_PGM_RSRC2:TGID_Z_EN: 0
; COMPUTE_PGM_RSRC2:TIDIG_COMP_CNT: 0
; COMPUTE_PGM_RSRC3_GFX90A:ACCUM_OFFSET: 23
; COMPUTE_PGM_RSRC3_GFX90A:TG_SPLIT: 0
	.section	.text._ZN2at6native12_GLOBAL__N_143distribution_elementwise_grid_stride_kernelIfLi4EZNS0_9templates4cuda20normal_and_transformIN3c108BFloat16EfPNS_17CUDAGeneratorImplEZZZNS4_13normal_kernelIS9_EEvRKNS_10TensorBaseEddT_ENKUlvE_clEvENKUlvE2_clEvEUlfE_EEvRNS_18TensorIteratorBaseET1_T2_EUlP25hiprandStatePhilox4_32_10E_ZNS1_27distribution_nullary_kernelIS7_f15HIP_vector_typeIdLj2EES9_SO_SH_EEvSJ_SL_RKT3_T4_EUlifE0_EEvlNS_15PhiloxCudaStateESK_SL_,"axG",@progbits,_ZN2at6native12_GLOBAL__N_143distribution_elementwise_grid_stride_kernelIfLi4EZNS0_9templates4cuda20normal_and_transformIN3c108BFloat16EfPNS_17CUDAGeneratorImplEZZZNS4_13normal_kernelIS9_EEvRKNS_10TensorBaseEddT_ENKUlvE_clEvENKUlvE2_clEvEUlfE_EEvRNS_18TensorIteratorBaseET1_T2_EUlP25hiprandStatePhilox4_32_10E_ZNS1_27distribution_nullary_kernelIS7_f15HIP_vector_typeIdLj2EES9_SO_SH_EEvSJ_SL_RKT3_T4_EUlifE0_EEvlNS_15PhiloxCudaStateESK_SL_,comdat
	.globl	_ZN2at6native12_GLOBAL__N_143distribution_elementwise_grid_stride_kernelIfLi4EZNS0_9templates4cuda20normal_and_transformIN3c108BFloat16EfPNS_17CUDAGeneratorImplEZZZNS4_13normal_kernelIS9_EEvRKNS_10TensorBaseEddT_ENKUlvE_clEvENKUlvE2_clEvEUlfE_EEvRNS_18TensorIteratorBaseET1_T2_EUlP25hiprandStatePhilox4_32_10E_ZNS1_27distribution_nullary_kernelIS7_f15HIP_vector_typeIdLj2EES9_SO_SH_EEvSJ_SL_RKT3_T4_EUlifE0_EEvlNS_15PhiloxCudaStateESK_SL_ ; -- Begin function _ZN2at6native12_GLOBAL__N_143distribution_elementwise_grid_stride_kernelIfLi4EZNS0_9templates4cuda20normal_and_transformIN3c108BFloat16EfPNS_17CUDAGeneratorImplEZZZNS4_13normal_kernelIS9_EEvRKNS_10TensorBaseEddT_ENKUlvE_clEvENKUlvE2_clEvEUlfE_EEvRNS_18TensorIteratorBaseET1_T2_EUlP25hiprandStatePhilox4_32_10E_ZNS1_27distribution_nullary_kernelIS7_f15HIP_vector_typeIdLj2EES9_SO_SH_EEvSJ_SL_RKT3_T4_EUlifE0_EEvlNS_15PhiloxCudaStateESK_SL_
	.p2align	8
	.type	_ZN2at6native12_GLOBAL__N_143distribution_elementwise_grid_stride_kernelIfLi4EZNS0_9templates4cuda20normal_and_transformIN3c108BFloat16EfPNS_17CUDAGeneratorImplEZZZNS4_13normal_kernelIS9_EEvRKNS_10TensorBaseEddT_ENKUlvE_clEvENKUlvE2_clEvEUlfE_EEvRNS_18TensorIteratorBaseET1_T2_EUlP25hiprandStatePhilox4_32_10E_ZNS1_27distribution_nullary_kernelIS7_f15HIP_vector_typeIdLj2EES9_SO_SH_EEvSJ_SL_RKT3_T4_EUlifE0_EEvlNS_15PhiloxCudaStateESK_SL_,@function
_ZN2at6native12_GLOBAL__N_143distribution_elementwise_grid_stride_kernelIfLi4EZNS0_9templates4cuda20normal_and_transformIN3c108BFloat16EfPNS_17CUDAGeneratorImplEZZZNS4_13normal_kernelIS9_EEvRKNS_10TensorBaseEddT_ENKUlvE_clEvENKUlvE2_clEvEUlfE_EEvRNS_18TensorIteratorBaseET1_T2_EUlP25hiprandStatePhilox4_32_10E_ZNS1_27distribution_nullary_kernelIS7_f15HIP_vector_typeIdLj2EES9_SO_SH_EEvSJ_SL_RKT3_T4_EUlifE0_EEvlNS_15PhiloxCudaStateESK_SL_: ; @_ZN2at6native12_GLOBAL__N_143distribution_elementwise_grid_stride_kernelIfLi4EZNS0_9templates4cuda20normal_and_transformIN3c108BFloat16EfPNS_17CUDAGeneratorImplEZZZNS4_13normal_kernelIS9_EEvRKNS_10TensorBaseEddT_ENKUlvE_clEvENKUlvE2_clEvEUlfE_EEvRNS_18TensorIteratorBaseET1_T2_EUlP25hiprandStatePhilox4_32_10E_ZNS1_27distribution_nullary_kernelIS7_f15HIP_vector_typeIdLj2EES9_SO_SH_EEvSJ_SL_RKT3_T4_EUlifE0_EEvlNS_15PhiloxCudaStateESK_SL_
; %bb.0:
	s_load_dword s2, s[4:5], 0x20
	s_load_dwordx2 s[0:1], s[4:5], 0x10
	s_load_dwordx4 s[24:27], s[4:5], 0x0
	s_waitcnt lgkmcnt(0)
	s_bitcmp0_b32 s2, 0
	s_mov_b32 s2, 0
	v_pk_mov_b32 v[2:3], s[0:1], s[0:1] op_sel:[0,1]
	v_pk_mov_b32 v[12:13], s[26:27], s[26:27] op_sel:[0,1]
	s_cbranch_scc1 .LBB13_2
; %bb.1:
	v_pk_mov_b32 v[2:3], s[0:1], s[0:1] op_sel:[0,1]
	flat_load_dwordx2 v[2:3], v[2:3]
	v_pk_mov_b32 v[4:5], s[26:27], s[26:27] op_sel:[0,1]
	flat_load_dwordx2 v[12:13], v[4:5]
	s_load_dwordx2 s[0:1], s[4:5], 0x18
	s_waitcnt lgkmcnt(0)
	v_mov_b32_e32 v1, s1
	s_waitcnt vmcnt(0)
	v_add_co_u32_e32 v2, vcc, s0, v2
	v_addc_co_u32_e32 v3, vcc, v3, v1, vcc
.LBB13_2:
	s_load_dword s0, s[4:5], 0x154
	s_load_dword s7, s[4:5], 0x148
	s_waitcnt lgkmcnt(0)
	s_and_b32 s8, s0, 0xffff
	s_add_u32 s9, s24, -1
	s_mul_i32 s33, s7, s8
	s_addc_u32 s3, s25, -1
	s_lshl_b32 s82, s33, 2
	s_cmp_lg_u64 s[2:3], 0
	s_mov_b64 s[0:1], -1
	s_cbranch_scc0 .LBB13_51
; %bb.3:
	v_cvt_f32_u32_e32 v1, s82
	v_cvt_f32_ubyte0_e32 v4, 0
	s_sub_u32 s2, 0, s82
	s_subb_u32 s10, 0, 0
	v_madmk_f32 v1, v4, 0x4f800000, v1
	v_rcp_f32_e32 v1, v1
	v_mul_f32_e32 v1, 0x5f7ffffc, v1
	v_mul_f32_e32 v4, 0x2f800000, v1
	v_trunc_f32_e32 v4, v4
	v_madmk_f32 v1, v4, 0xcf800000, v1
	v_cvt_u32_f32_e32 v4, v4
	v_cvt_u32_f32_e32 v1, v1
	v_readfirstlane_b32 s11, v4
	v_readfirstlane_b32 s12, v1
	s_mul_i32 s13, s2, s11
	s_mul_hi_u32 s15, s2, s12
	s_mul_i32 s14, s10, s12
	s_add_i32 s13, s15, s13
	s_add_i32 s13, s13, s14
	s_mul_i32 s16, s2, s12
	s_mul_hi_u32 s14, s12, s13
	s_mul_i32 s15, s12, s13
	s_mul_hi_u32 s12, s12, s16
	s_add_u32 s12, s12, s15
	s_addc_u32 s14, 0, s14
	s_mul_hi_u32 s17, s11, s16
	s_mul_i32 s16, s11, s16
	s_add_u32 s12, s12, s16
	s_mul_hi_u32 s15, s11, s13
	s_addc_u32 s12, s14, s17
	s_addc_u32 s14, s15, 0
	s_mul_i32 s13, s11, s13
	s_add_u32 s12, s12, s13
	s_addc_u32 s13, 0, s14
	v_add_co_u32_e32 v1, vcc, s12, v1
	s_cmp_lg_u64 vcc, 0
	s_addc_u32 s11, s11, s13
	v_readfirstlane_b32 s13, v1
	s_mul_i32 s12, s2, s11
	s_mul_hi_u32 s14, s2, s13
	s_add_i32 s12, s14, s12
	s_mul_i32 s10, s10, s13
	s_add_i32 s12, s12, s10
	s_mul_i32 s2, s2, s13
	s_mul_hi_u32 s14, s11, s2
	s_mul_i32 s15, s11, s2
	s_mul_i32 s17, s13, s12
	s_mul_hi_u32 s2, s13, s2
	s_mul_hi_u32 s16, s13, s12
	s_add_u32 s2, s2, s17
	s_addc_u32 s13, 0, s16
	s_add_u32 s2, s2, s15
	s_mul_hi_u32 s10, s11, s12
	s_addc_u32 s2, s13, s14
	s_addc_u32 s10, s10, 0
	s_mul_i32 s12, s11, s12
	s_add_u32 s2, s2, s12
	s_addc_u32 s10, 0, s10
	v_add_co_u32_e32 v1, vcc, s2, v1
	s_cmp_lg_u64 vcc, 0
	s_addc_u32 s12, s11, s10
	s_ashr_i32 s10, s3, 31
	s_add_u32 s2, s9, s10
	s_mov_b32 s11, s10
	s_addc_u32 s3, s3, s10
	s_xor_b64 s[2:3], s[2:3], s[10:11]
	v_readfirstlane_b32 s15, v1
	s_mul_i32 s14, s2, s12
	s_mul_hi_u32 s16, s2, s15
	s_mul_hi_u32 s13, s2, s12
	s_add_u32 s14, s16, s14
	s_addc_u32 s13, 0, s13
	s_mul_hi_u32 s17, s3, s15
	s_mul_i32 s15, s3, s15
	s_add_u32 s14, s14, s15
	s_mul_hi_u32 s16, s3, s12
	s_addc_u32 s13, s13, s17
	s_addc_u32 s14, s16, 0
	s_mul_i32 s12, s3, s12
	s_add_u32 s12, s13, s12
	s_addc_u32 s13, 0, s14
	s_add_u32 s14, s12, 1
	s_addc_u32 s15, s13, 0
	s_add_u32 s16, s12, 2
	s_mul_i32 s18, s82, s13
	s_mul_hi_u32 s19, s82, s12
	s_addc_u32 s17, s13, 0
	s_add_i32 s19, s19, s18
	s_mul_i32 s18, s82, s12
	v_mov_b32_e32 v1, s18
	v_sub_co_u32_e32 v1, vcc, s2, v1
	s_cmp_lg_u64 vcc, 0
	s_subb_u32 s2, s3, s19
	v_subrev_co_u32_e32 v4, vcc, s82, v1
	s_cmp_lg_u64 vcc, 0
	s_subb_u32 s3, s2, 0
	v_readfirstlane_b32 s18, v4
	s_cmp_ge_u32 s18, s82
	s_cselect_b32 s18, -1, 0
	s_cmp_eq_u32 s3, 0
	s_cselect_b32 s3, s18, -1
	s_cmp_lg_u32 s3, 0
	s_cselect_b32 s3, s17, s15
	v_readfirstlane_b32 s15, v1
	s_cselect_b32 s14, s16, s14
	s_cmp_ge_u32 s15, s82
	s_cselect_b32 s15, -1, 0
	s_cmp_eq_u32 s2, 0
	s_cselect_b32 s2, s15, -1
	s_cmp_lg_u32 s2, 0
	s_cselect_b32 s3, s3, s13
	s_cselect_b32 s2, s14, s12
	s_xor_b64 s[2:3], s[2:3], s[10:11]
	s_sub_u32 s2, s2, s10
	s_subb_u32 s3, s3, s10
	s_cbranch_execnz .LBB13_5
.LBB13_4:
	v_cvt_f32_u32_e32 v1, s82
	s_sub_i32 s0, 0, s82
	s_mov_b32 s3, 0
	v_rcp_iflag_f32_e32 v1, v1
	v_mul_f32_e32 v1, 0x4f7ffffe, v1
	v_cvt_u32_f32_e32 v1, v1
	v_readfirstlane_b32 s1, v1
	s_mul_i32 s0, s0, s1
	s_mul_hi_u32 s0, s1, s0
	s_add_i32 s1, s1, s0
	s_mul_hi_u32 s0, s9, s1
	s_mul_i32 s2, s0, s82
	s_sub_i32 s2, s9, s2
	s_add_i32 s1, s0, 1
	s_sub_i32 s9, s2, s82
	s_cmp_ge_u32 s2, s82
	s_cselect_b32 s0, s1, s0
	s_cselect_b32 s2, s9, s2
	s_add_i32 s1, s0, 1
	s_cmp_ge_u32 s2, s82
	s_cselect_b32 s2, s1, s0
.LBB13_5:
	v_mov_b32_e32 v1, 0
	v_mov_b32_e32 v4, s6
	v_mad_u64_u32 v[14:15], s[0:1], s8, v4, v[0:1]
	s_add_u32 s0, s2, 1
	s_addc_u32 s1, s3, 0
	s_mul_hi_u32 s2, s7, s8
	s_mul_i32 s1, s33, s1
	s_mul_hi_u32 s3, s33, s0
	s_add_i32 s1, s3, s1
	s_mul_i32 s2, s2, s0
	s_add_i32 s1, s1, s2
	s_mul_i32 s0, s33, s0
	s_lshl_b64 s[26:27], s[0:1], 2
	v_cmp_gt_i64_e32 vcc, s[26:27], v[14:15]
	s_and_saveexec_b64 s[0:1], vcc
	s_cbranch_execz .LBB13_50
; %bb.6:
	s_mov_b32 s0, 0x5384540f
	v_mov_b32_e32 v0, v13
	v_add_co_u32_e32 v60, vcc, s0, v12
	s_mov_b32 s0, 0x646e171e
	v_add_co_u32_e32 v61, vcc, s0, v0
	s_mov_b32 s0, 0x1715609d
	;; [unrolled: 2-line block ×6, first 2 shown]
	v_alignbit_b32 v67, v3, v2, 2
	s_mov_b32 s84, 0xd2511f53
	v_add_co_u32_e32 v66, vcc, s0, v12
	v_mad_u64_u32 v[4:5], s[0:1], v67, s84, 0
	v_and_b32_e32 v56, 3, v2
	v_xor_b32_e32 v2, v5, v13
	v_xor_b32_e32 v2, v2, v15
	s_mov_b32 s85, 0xcd9e8d57
	v_mad_u64_u32 v[6:7], s[0:1], v2, s85, 0
	v_xor_b32_e32 v2, v66, v7
	v_mad_u64_u32 v[8:9], s[0:1], v14, s85, 0
	v_xor_b32_e32 v2, v2, v8
	;; [unrolled: 2-line block ×3, first 2 shown]
	v_lshrrev_b32_e32 v68, 2, v3
	v_xor_b32_e32 v2, v2, v68
	v_xor_b32_e32 v5, v65, v11
	v_mad_u64_u32 v[2:3], s[0:1], v2, s84, 0
	v_xor_b32_e32 v2, v5, v2
	v_mad_u64_u32 v[8:9], s[0:1], v2, s85, 0
	s_mov_b32 s0, 0xbb67ae85
	v_add_co_u32_e32 v69, vcc, s0, v0
	v_xor_b32_e32 v2, v69, v3
	v_xor_b32_e32 v2, v2, v4
	v_xor_b32_e32 v5, v64, v9
	v_mad_u64_u32 v[2:3], s[0:1], v2, s85, 0
	v_xor_b32_e32 v2, v5, v2
	v_mad_u64_u32 v[4:5], s[0:1], v2, s84, 0
	s_mov_b32 s0, 0x3c6ef372
	v_add_co_u32_e32 v70, vcc, s0, v12
	v_xor_b32_e32 v2, v70, v3
	;; [unrolled: 8-line block ×6, first 2 shown]
	v_add_co_u32_e32 v59, vcc, 0xdb3d7428, v0
	v_xor_b32_e32 v2, v2, v6
	v_xor_b32_e32 v5, v59, v5
	v_mad_u64_u32 v[2:3], s[0:1], v2, s84, 0
	v_xor_b32_e32 v2, v5, v2
	v_mad_u64_u32 v[16:17], s[0:1], v2, s85, 0
	s_mov_b32 s0, 0x1fd5c5a3
	v_add_co_u32_e32 v75, vcc, s0, v0
	v_xor_b32_e32 v0, v75, v3
	v_xor_b32_e32 v0, v0, v10
	v_mad_u64_u32 v[2:3], s[0:1], v0, s85, 0
	s_mov_b32 s0, 0xf1bbcdc8
	s_load_dwordx8 s[8:15], s[4:5], 0x30
	v_add_u32_e32 v57, 0x8ff34781, v12
	v_xor_b32_e32 v0, v17, v2
	v_add_co_u32_e32 v76, vcc, s0, v12
	v_xor_b32_e32 v6, v57, v0
	v_xor_b32_e32 v0, v76, v3
	;; [unrolled: 1-line block ×3, first 2 shown]
	s_add_u32 s34, s4, 48
	v_mad_u64_u32 v[2:3], s[0:1], v0, s84, 0
	s_addc_u32 s35, s5, 0
	s_waitcnt lgkmcnt(0)
	s_add_i32 s0, s8, -1
	s_cmp_gt_u32 s0, 1
	s_cselect_b64 s[44:45], -1, 0
	s_cmp_lg_u32 s8, 0
	s_cselect_b64 s[46:47], -1, 0
	s_add_u32 s48, s4, 0xf4
	s_addc_u32 s49, s5, 0
	s_min_u32 s1, s0, 15
	s_cmp_gt_u32 s8, 1
	s_cselect_b64 s[50:51], -1, 0
	s_add_i32 s1, s1, 1
	s_mov_b32 s8, s13
	s_load_dwordx2 s[52:53], s[4:5], 0xf4
	s_load_dwordx4 s[28:31], s[4:5], 0x138
	s_and_b32 s13, s1, 3
	s_cmp_lg_u32 s0, 2
	s_cselect_b64 s[54:55], -1, 0
	s_and_b32 s15, s1, 28
	v_add_u32_e32 v58, 0x96a522ad, v13
	v_xor_b32_e32 v0, v3, v4
	s_cmp_lg_u32 s13, 0
	s_mov_b32 s60, 0x55555555
	s_mov_b32 s62, 0xbf559e2b
	;; [unrolled: 1-line block ×10, first 2 shown]
	v_xor_b32_e32 v8, v58, v0
	v_mov_b32_e32 v7, v16
	v_mov_b32_e32 v9, v2
	s_mov_b64 s[56:57], 0
	s_cselect_b64 s[58:59], -1, 0
	s_mov_b32 s61, 0x3fe55555
	s_mov_b32 s63, 0x3fc3ab76
	s_mov_b32 s65, 0x3fe62e42
	s_mov_b32 s67, 0x3c7abc9e
	s_mov_b32 s69, 0x7ff00000
	s_brev_b32 s71, 8
	s_mov_b32 s73, 0x3f3e357e
	s_mov_b32 s75, 0x400921fb
	;; [unrolled: 1-line block ×3, first 2 shown]
	s_movk_i32 s86, 0x7fff
	v_mov_b32_e32 v16, 0x6b47b09a
	v_mov_b32_e32 v17, 0x3fc38538
	;; [unrolled: 1-line block ×42, first 2 shown]
	s_branch .LBB13_9
.LBB13_7:                               ;   in Loop: Header=BB13_9 Depth=1
	v_xor_b32_e32 v5, 0x80000000, v9
	v_and_b32_e32 v0, 0x80000000, v0
	v_cndmask_b32_e64 v5, v5, v11, s[2:3]
	v_cndmask_b32_e64 v8, v8, v10, s[2:3]
	v_xor_b32_e32 v0, v5, v0
	v_cndmask_b32_e64 v9, v81, v0, s[0:1]
	v_cndmask_b32_e64 v8, 0, v8, s[0:1]
	v_mul_f64 v[6:7], v[6:7], v[8:9]
	v_cvt_f32_f64_e32 v0, v[6:7]
	s_waitcnt lgkmcnt(0)
	v_mov_b32_e32 v5, s30
	v_fma_f32 v0, s31, v0, v5
	v_bfe_u32 v5, v0, 16, 1
	v_add3_u32 v5, v0, v5, s86
	v_lshrrev_b32_e32 v5, 16, v5
	v_cmp_o_f32_e32 vcc, v0, v0
	v_cndmask_b32_e32 v0, v82, v5, vcc
	global_store_short v54, v0, s[28:29]
.LBB13_8:                               ;   in Loop: Header=BB13_9 Depth=1
	s_or_b64 exec, exec, s[40:41]
	v_add_co_u32_e32 v14, vcc, s82, v14
	v_mov_b32_e32 v5, v50
	v_addc_co_u32_e32 v15, vcc, 0, v15, vcc
	v_cmp_le_i64_e32 vcc, s[26:27], v[14:15]
	v_pk_mov_b32 v[8:9], v[4:5], v[4:5] op_sel:[0,1]
	s_or_b64 s[56:57], vcc, s[56:57]
	v_pk_mov_b32 v[6:7], v[2:3], v[2:3] op_sel:[0,1]
	s_waitcnt lgkmcnt(0)
	s_barrier
	s_andn2_b64 exec, exec, s[56:57]
	s_cbranch_execz .LBB13_50
.LBB13_9:                               ; =>This Loop Header: Depth=1
                                        ;     Child Loop BB13_24 Depth 2
                                        ;     Child Loop BB13_30 Depth 2
                                        ;     Child Loop BB13_40 Depth 2
                                        ;     Child Loop BB13_46 Depth 2
	v_add_co_u32_e32 v67, vcc, 1, v67
	v_cndmask_b32_e64 v0, 0, 1, vcc
	v_addc_co_u32_e32 v68, vcc, 0, v68, vcc
	v_cmp_eq_u32_e32 vcc, 0, v68
	v_cndmask_b32_e32 v0, 0, v0, vcc
	v_add_u32_e32 v83, v0, v83
	v_cmp_eq_u32_e32 vcc, 0, v83
	v_cndmask_b32_e32 v0, 0, v0, vcc
	v_mad_u64_u32 v[2:3], s[0:1], v67, s84, 0
	v_mad_u64_u32 v[4:5], s[0:1], v83, s85, 0
	v_add_u32_e32 v84, v0, v84
	v_xor_b32_e32 v0, v5, v12
	v_xor_b32_e32 v3, v3, v13
	v_xor_b32_e32 v0, v68, v0
	v_xor_b32_e32 v3, v84, v3
	v_mad_u64_u32 v[10:11], s[0:1], v0, s84, 0
	v_mad_u64_u32 v[50:51], s[0:1], v3, s85, 0
	v_xor_b32_e32 v0, v66, v51
	v_xor_b32_e32 v3, v69, v11
	v_xor_b32_e32 v0, v0, v4
	v_xor_b32_e32 v4, v3, v2
	v_mad_u64_u32 v[2:3], s[0:1], v0, s84, 0
	v_mad_u64_u32 v[4:5], s[0:1], v4, s85, 0
	;; [unrolled: 6-line block ×9, first 2 shown]
	v_xor_b32_e32 v0, v11, v2
	v_xor_b32_e32 v2, v57, v0
	;; [unrolled: 1-line block ×4, first 2 shown]
	v_mov_b32_e32 v3, v10
	v_mov_b32_e32 v4, v11
	v_cmp_lt_i32_e32 vcc, 1, v56
	s_and_saveexec_b64 s[0:1], vcc
	s_xor_b64 s[0:1], exec, s[0:1]
	s_cbranch_execz .LBB13_15
; %bb.10:                               ;   in Loop: Header=BB13_9 Depth=1
	v_cmp_lt_i32_e32 vcc, 2, v56
	s_and_saveexec_b64 s[2:3], vcc
	s_xor_b64 s[2:3], exec, s[2:3]
; %bb.11:                               ;   in Loop: Header=BB13_9 Depth=1
	v_mov_b32_e32 v8, v9
	v_mov_b32_e32 v9, v2
	v_pk_mov_b32 v[6:7], v[8:9], v[8:9] op_sel:[0,1]
	v_pk_mov_b32 v[8:9], v[10:11], v[10:11] op_sel:[0,1]
                                        ; implicit-def: $vgpr10_vgpr11
; %bb.12:                               ;   in Loop: Header=BB13_9 Depth=1
	s_andn2_saveexec_b64 s[2:3], s[2:3]
; %bb.13:                               ;   in Loop: Header=BB13_9 Depth=1
	v_mov_b32_e32 v6, v8
	v_mov_b32_e32 v7, v9
	;; [unrolled: 1-line block ×4, first 2 shown]
; %bb.14:                               ;   in Loop: Header=BB13_9 Depth=1
	s_or_b64 exec, exec, s[2:3]
.LBB13_15:                              ;   in Loop: Header=BB13_9 Depth=1
	s_andn2_saveexec_b64 s[0:1], s[0:1]
	s_cbranch_execz .LBB13_19
; %bb.16:                               ;   in Loop: Header=BB13_9 Depth=1
	v_cmp_eq_u32_e32 vcc, 1, v56
	s_and_saveexec_b64 s[2:3], vcc
; %bb.17:                               ;   in Loop: Header=BB13_9 Depth=1
	v_mov_b32_e32 v6, v7
	v_mov_b32_e32 v7, v8
	;; [unrolled: 1-line block ×4, first 2 shown]
; %bb.18:                               ;   in Loop: Header=BB13_9 Depth=1
	s_or_b64 exec, exec, s[2:3]
.LBB13_19:                              ;   in Loop: Header=BB13_9 Depth=1
	s_or_b64 exec, exec, s[0:1]
	v_mov_b32_e32 v0, v7
	v_lshlrev_b64 v[10:11], 21, v[0:1]
	v_xor_b32_e32 v0, v10, v6
	v_cvt_f64_u32_e32 v[6:7], v11
	v_ldexp_f64 v[6:7], v[6:7], 32
	v_cvt_f64_u32_e32 v[10:11], v0
	v_add_f64 v[6:7], v[6:7], v[10:11]
	v_mov_b32_e32 v10, 0
	v_mov_b32_e32 v11, 0x3ca00000
	v_fmac_f64_e32 v[10:11], 0x3ca00000, v[6:7]
	v_frexp_mant_f64_e32 v[52:53], v[10:11]
	v_cmp_gt_f64_e32 vcc, s[60:61], v[52:53]
	v_cndmask_b32_e64 v55, v78, 2.0, vcc
	v_mov_b32_e32 v54, v1
	v_mul_f64 v[52:53], v[52:53], v[54:55]
	v_add_f64 v[54:55], v[52:53], 1.0
	v_rcp_f64_e32 v[86:87], v[54:55]
	v_add_f64 v[90:91], v[54:55], -1.0
	v_add_f64 v[88:89], v[52:53], -1.0
	v_add_f64 v[52:53], v[52:53], -v[90:91]
	v_fma_f64 v[90:91], -v[54:55], v[86:87], 1.0
	v_fmac_f64_e32 v[86:87], v[90:91], v[86:87]
	v_fma_f64 v[90:91], -v[54:55], v[86:87], 1.0
	v_fmac_f64_e32 v[86:87], v[90:91], v[86:87]
	v_mul_f64 v[90:91], v[88:89], v[86:87]
	v_mul_f64 v[92:93], v[54:55], v[90:91]
	v_fma_f64 v[54:55], v[90:91], v[54:55], -v[92:93]
	v_fmac_f64_e32 v[54:55], v[90:91], v[52:53]
	v_add_f64 v[52:53], v[92:93], v[54:55]
	v_add_f64 v[94:95], v[88:89], -v[52:53]
	v_add_f64 v[92:93], v[52:53], -v[92:93]
	v_add_f64 v[88:89], v[88:89], -v[94:95]
	v_add_f64 v[52:53], v[88:89], -v[52:53]
	v_add_f64 v[54:55], v[92:93], -v[54:55]
	v_add_f64 v[52:53], v[54:55], v[52:53]
	v_add_f64 v[52:53], v[94:95], v[52:53]
	v_mul_f64 v[52:53], v[86:87], v[52:53]
	v_add_f64 v[54:55], v[90:91], v[52:53]
	v_add_f64 v[86:87], v[54:55], -v[90:91]
	v_add_f64 v[52:53], v[52:53], -v[86:87]
	v_mul_f64 v[86:87], v[54:55], v[54:55]
	v_pk_mov_b32 v[88:89], v[16:17], v[16:17] op_sel:[0,1]
	v_fmac_f64_e32 v[88:89], s[62:63], v[86:87]
	v_pk_mov_b32 v[90:91], v[18:19], v[18:19] op_sel:[0,1]
	v_fmac_f64_e32 v[90:91], v[86:87], v[88:89]
	;; [unrolled: 2-line block ×6, first 2 shown]
	v_ldexp_f64 v[88:89], v[54:55], 1
	v_mul_f64 v[54:55], v[54:55], v[86:87]
	v_mul_f64 v[54:55], v[54:55], v[90:91]
	v_add_f64 v[86:87], v[88:89], v[54:55]
	v_mov_b32_e32 v0, v9
	v_add_f64 v[88:89], v[86:87], -v[88:89]
	v_lshlrev_b64 v[6:7], 21, v[0:1]
	v_ldexp_f64 v[52:53], v[52:53], 1
	v_add_f64 v[54:55], v[54:55], -v[88:89]
	v_xor_b32_e32 v0, v6, v8
	v_add_f64 v[52:53], v[52:53], v[54:55]
	v_cvt_f64_u32_e32 v[8:9], v0
	v_frexp_exp_i32_f64_e32 v0, v[10:11]
	v_add_f64 v[54:55], v[86:87], v[52:53]
	v_subbrev_co_u32_e32 v0, vcc, 0, v0, vcc
	v_add_f64 v[86:87], v[54:55], -v[86:87]
	v_add_f64 v[52:53], v[52:53], -v[86:87]
	v_cvt_f64_i32_e32 v[86:87], v0
	v_mul_f64 v[88:89], v[86:87], s[64:65]
	v_fma_f64 v[90:91], v[86:87], s[64:65], -v[88:89]
	v_fmac_f64_e32 v[90:91], s[66:67], v[86:87]
	v_add_f64 v[86:87], v[88:89], v[90:91]
	v_add_f64 v[88:89], v[86:87], -v[88:89]
	v_add_f64 v[88:89], v[90:91], -v[88:89]
	v_add_f64 v[90:91], v[86:87], v[54:55]
	v_add_f64 v[92:93], v[90:91], -v[86:87]
	v_add_f64 v[94:95], v[90:91], -v[92:93]
	;; [unrolled: 1-line block ×4, first 2 shown]
	v_add_f64 v[54:55], v[54:55], v[86:87]
	v_add_f64 v[86:87], v[88:89], v[52:53]
	v_add_f64 v[92:93], v[86:87], -v[88:89]
	v_add_f64 v[94:95], v[86:87], -v[92:93]
	v_add_f64 v[54:55], v[86:87], v[54:55]
	v_add_f64 v[88:89], v[88:89], -v[94:95]
	v_add_f64 v[52:53], v[52:53], -v[92:93]
	v_add_f64 v[86:87], v[90:91], v[54:55]
	v_add_f64 v[52:53], v[52:53], v[88:89]
	v_add_f64 v[88:89], v[86:87], -v[90:91]
	v_add_f64 v[54:55], v[54:55], -v[88:89]
	v_add_f64 v[52:53], v[52:53], v[54:55]
	v_add_f64 v[52:53], v[86:87], v[52:53]
	v_cmp_eq_f64_e32 vcc, s[68:69], v[10:11]
	v_cndmask_b32_e32 v53, v53, v11, vcc
	v_cndmask_b32_e32 v52, v52, v10, vcc
	v_mul_f64 v[52:53], v[52:53], -2.0
	v_cmp_neq_f64_e32 vcc, 0, v[10:11]
	v_cndmask_b32_e32 v11, v79, v53, vcc
	v_cndmask_b32_e32 v10, 0, v52, vcc
	v_cmp_gt_f64_e32 vcc, s[70:71], v[10:11]
	v_cndmask_b32_e64 v0, 0, 1, vcc
	v_lshlrev_b32_e32 v0, 8, v0
	v_ldexp_f64 v[10:11], v[10:11], v0
	v_rsq_f64_e32 v[54:55], v[10:11]
	v_cvt_f64_u32_e32 v[6:7], v7
	v_ldexp_f64 v[6:7], v[6:7], 32
	v_mov_b32_e32 v52, 0
	v_add_f64 v[6:7], v[6:7], v[8:9]
	v_mov_b32_e32 v53, 0x3cb00000
	v_fmac_f64_e32 v[52:53], 0x3cb00000, v[6:7]
	v_mul_f64 v[6:7], v[10:11], v[54:55]
	v_mul_f64 v[8:9], v[54:55], 0.5
	v_fma_f64 v[54:55], -v[8:9], v[6:7], 0.5
	v_fmac_f64_e32 v[6:7], v[6:7], v[54:55]
	v_fma_f64 v[86:87], -v[6:7], v[6:7], v[10:11]
	v_fmac_f64_e32 v[8:9], v[8:9], v[54:55]
	v_fmac_f64_e32 v[6:7], v[86:87], v[8:9]
	v_fma_f64 v[54:55], -v[6:7], v[6:7], v[10:11]
	v_fmac_f64_e32 v[6:7], v[54:55], v[8:9]
	v_cndmask_b32_e32 v0, 0, v80, vcc
	v_ldexp_f64 v[6:7], v[6:7], v0
	v_cmp_class_f64_e32 vcc, v[10:11], v77
	v_mul_f64 v[8:9], v[52:53], 0.5
	v_cndmask_b32_e32 v7, v7, v11, vcc
	v_cndmask_b32_e32 v6, v6, v10, vcc
	v_fract_f64_e32 v[10:11], v[8:9]
	v_add_f64 v[10:11], v[10:11], v[10:11]
	v_cmp_neq_f64_e32 vcc, s[68:69], v[8:9]
	v_cndmask_b32_e32 v0, 0, v10, vcc
	v_cndmask_b32_e32 v5, 0, v11, vcc
	v_cmp_lt_f64_e32 vcc, 1.0, v[52:53]
	v_cndmask_b32_e32 v11, v53, v5, vcc
	v_cndmask_b32_e32 v10, v52, v0, vcc
	v_add_f64 v[8:9], v[10:11], v[10:11]
	v_rndne_f64_e32 v[8:9], v[8:9]
	v_fmac_f64_e32 v[10:11], -0.5, v[8:9]
	v_cvt_i32_f64_e32 v5, v[8:9]
	v_mul_f64 v[54:55], v[10:11], v[10:11]
	v_pk_mov_b32 v[8:9], v[28:29], v[28:29] op_sel:[0,1]
	v_fmac_f64_e32 v[8:9], s[72:73], v[54:55]
	v_pk_mov_b32 v[86:87], v[30:31], v[30:31] op_sel:[0,1]
	v_fmac_f64_e32 v[86:87], v[54:55], v[8:9]
	v_pk_mov_b32 v[8:9], v[32:33], v[32:33] op_sel:[0,1]
	v_fmac_f64_e32 v[8:9], v[54:55], v[86:87]
	v_pk_mov_b32 v[86:87], v[34:35], v[34:35] op_sel:[0,1]
	v_fmac_f64_e32 v[86:87], v[54:55], v[8:9]
	v_pk_mov_b32 v[8:9], v[36:37], v[36:37] op_sel:[0,1]
	v_fmac_f64_e32 v[8:9], v[54:55], v[86:87]
	v_mul_f64 v[86:87], v[10:11], v[54:55]
	v_mul_f64 v[8:9], v[86:87], v[8:9]
	v_fmac_f64_e32 v[8:9], s[74:75], v[10:11]
	v_pk_mov_b32 v[10:11], v[38:39], v[38:39] op_sel:[0,1]
	v_fmac_f64_e32 v[10:11], s[76:77], v[54:55]
	v_pk_mov_b32 v[86:87], v[40:41], v[40:41] op_sel:[0,1]
	;; [unrolled: 2-line block ×6, first 2 shown]
	v_lshlrev_b32_e32 v0, 30, v5
	v_and_b32_e32 v5, 1, v5
	v_fmac_f64_e32 v[86:87], v[54:55], v[10:11]
	v_cmp_eq_u32_e64 s[2:3], 0, v5
	v_cndmask_b32_e64 v5, 0, 1, s[44:45]
	v_fma_f64 v[10:11], v[54:55], v[86:87], 1.0
	v_cmp_lg_f64_e64 s[0:1], s[68:69], v[52:53]
	v_cmp_gt_i64_e32 vcc, s[24:25], v[14:15]
	v_cmp_ne_u32_e64 s[4:5], 1, v5
	s_and_saveexec_b64 s[6:7], vcc
	s_cbranch_execz .LBB13_35
; %bb.20:                               ;   in Loop: Header=BB13_9 Depth=1
	s_and_b64 vcc, exec, s[4:5]
	s_cbranch_vccnz .LBB13_26
; %bb.21:                               ;   in Loop: Header=BB13_9 Depth=1
	s_andn2_b64 vcc, exec, s[46:47]
	s_cbranch_vccnz .LBB13_27
; %bb.22:                               ;   in Loop: Header=BB13_9 Depth=1
	s_mov_b32 s18, 0
	s_andn2_b64 vcc, exec, s[54:55]
	v_mov_b32_e32 v54, 0
	s_cbranch_vccnz .LBB13_28
; %bb.23:                               ;   in Loop: Header=BB13_9 Depth=1
	s_mov_b32 s87, 0
	v_mov_b32_e32 v54, 0
	s_mov_b64 s[78:79], s[34:35]
	s_mov_b64 s[80:81], s[48:49]
	v_mov_b32_e32 v5, v14
.LBB13_24:                              ;   Parent Loop BB13_9 Depth=1
                                        ; =>  This Inner Loop Header: Depth=2
	s_load_dwordx8 s[16:23], s[78:79], 0x4
	s_load_dwordx4 s[36:39], s[78:79], 0x24
	s_load_dwordx4 s[40:43], s[80:81], 0x0
	s_add_u32 s78, s78, 48
	s_addc_u32 s79, s79, 0
	s_waitcnt lgkmcnt(0)
	v_mul_hi_u32 v51, s17, v5
	v_add_u32_e32 v51, v5, v51
	v_lshrrev_b32_e32 v51, s18, v51
	v_mul_lo_u32 v52, v51, s16
	v_mul_hi_u32 v55, s20, v51
	v_sub_u32_e32 v5, v5, v52
	v_add_u32_e32 v52, v51, v55
	v_lshrrev_b32_e32 v52, s21, v52
	v_mul_lo_u32 v55, v52, s19
	v_mul_hi_u32 v85, s23, v52
	v_sub_u32_e32 v51, v51, v55
	v_add_u32_e32 v55, v52, v85
	v_mul_lo_u32 v5, v5, s40
	v_mul_lo_u32 v51, v51, s41
	v_lshrrev_b32_e32 v55, s36, v55
	v_add3_u32 v51, v5, v54, v51
	v_mul_lo_u32 v5, v55, s22
	v_mul_hi_u32 v54, s38, v55
	v_sub_u32_e32 v5, v52, v5
	v_add_u32_e32 v52, v55, v54
	v_mul_lo_u32 v54, v5, s42
	v_lshrrev_b32_e32 v5, s39, v52
	s_add_i32 s87, s87, 4
	v_mul_lo_u32 v52, v5, s37
	s_add_u32 s80, s80, 16
	v_sub_u32_e32 v52, v55, v52
	s_addc_u32 s81, s81, 0
	v_mul_lo_u32 v52, v52, s43
	s_cmp_lg_u32 s15, s87
	v_add3_u32 v54, v54, v51, v52
	s_cbranch_scc1 .LBB13_24
; %bb.25:                               ;   in Loop: Header=BB13_9 Depth=1
	s_mov_b32 s18, s15
	s_andn2_b64 vcc, exec, s[58:59]
	s_cbranch_vccz .LBB13_29
	s_branch .LBB13_31
.LBB13_26:                              ;   in Loop: Header=BB13_9 Depth=1
                                        ; implicit-def: $vgpr54
	s_branch .LBB13_32
.LBB13_27:                              ;   in Loop: Header=BB13_9 Depth=1
	v_mov_b32_e32 v54, 0
	s_branch .LBB13_31
.LBB13_28:                              ;   in Loop: Header=BB13_9 Depth=1
	v_mov_b32_e32 v5, v14
	s_andn2_b64 vcc, exec, s[58:59]
	s_cbranch_vccnz .LBB13_31
.LBB13_29:                              ;   in Loop: Header=BB13_9 Depth=1
	s_lshl_b32 s16, s18, 2
	s_add_u32 s16, s48, s16
	s_addc_u32 s17, s49, 0
	s_mul_i32 s18, s18, 12
	s_add_u32 s18, s34, s18
	s_addc_u32 s19, s35, 0
	s_mov_b32 s20, s13
.LBB13_30:                              ;   Parent Loop BB13_9 Depth=1
                                        ; =>  This Inner Loop Header: Depth=2
	s_load_dwordx2 s[22:23], s[18:19], 0x4
	s_load_dword s21, s[18:19], 0xc
	s_load_dword s36, s[16:17], 0x0
	s_add_u32 s18, s18, 12
	s_addc_u32 s19, s19, 0
	s_waitcnt lgkmcnt(0)
	v_mul_hi_u32 v51, s23, v5
	v_add_u32_e32 v51, v5, v51
	v_lshrrev_b32_e32 v51, s21, v51
	s_add_u32 s16, s16, 4
	v_mul_lo_u32 v52, v51, s22
	s_addc_u32 s17, s17, 0
	s_add_i32 s20, s20, -1
	v_sub_u32_e32 v52, v5, v52
	s_cmp_lg_u32 s20, 0
	v_mov_b32_e32 v5, v51
	v_mad_u64_u32 v[54:55], s[22:23], v52, s36, v[54:55]
	s_cbranch_scc1 .LBB13_30
.LBB13_31:                              ;   in Loop: Header=BB13_9 Depth=1
	s_cbranch_execnz .LBB13_34
.LBB13_32:                              ;   in Loop: Header=BB13_9 Depth=1
	v_mul_hi_u32 v5, v14, s10
	v_add_u32_e32 v5, v5, v14
	v_lshrrev_b32_e32 v5, s11, v5
	v_mul_lo_u32 v51, v5, s9
	v_sub_u32_e32 v51, v14, v51
	s_andn2_b64 vcc, exec, s[50:51]
	s_waitcnt lgkmcnt(0)
	v_mul_lo_u32 v54, v51, s52
	s_cbranch_vccnz .LBB13_34
; %bb.33:                               ;   in Loop: Header=BB13_9 Depth=1
	v_mul_hi_u32 v51, s8, v5
	v_add_u32_e32 v51, v5, v51
	v_lshrrev_b32_e32 v51, s14, v51
	v_mul_lo_u32 v51, v51, s12
	v_sub_u32_e32 v5, v5, v51
	v_mad_u64_u32 v[54:55], s[16:17], v5, s53, v[54:55]
.LBB13_34:                              ;   in Loop: Header=BB13_9 Depth=1
	v_xor_b32_e32 v52, v0, v53
	v_cndmask_b32_e64 v51, v11, v9, s[2:3]
	v_and_b32_e32 v52, 0x80000000, v52
	v_cndmask_b32_e64 v5, v10, v8, s[2:3]
	v_xor_b32_e32 v51, v51, v52
	v_cndmask_b32_e64 v52, 0, v5, s[0:1]
	v_cndmask_b32_e64 v53, v81, v51, s[0:1]
	v_mul_f64 v[52:53], v[6:7], v[52:53]
	v_cvt_f32_f64_e32 v5, v[52:53]
	s_waitcnt lgkmcnt(0)
	v_mov_b32_e32 v51, s30
	v_fma_f32 v5, s31, v5, v51
	v_bfe_u32 v51, v5, 16, 1
	v_add3_u32 v51, v5, v51, s86
	v_lshrrev_b32_e32 v51, 16, v51
	v_cmp_o_f32_e32 vcc, v5, v5
	v_cndmask_b32_e32 v5, v82, v51, vcc
	global_store_short v54, v5, s[28:29]
.LBB13_35:                              ;   in Loop: Header=BB13_9 Depth=1
	s_or_b64 exec, exec, s[6:7]
	v_mov_b32_e32 v5, s83
	v_add_co_u32_e32 v52, vcc, s33, v14
	v_addc_co_u32_e32 v53, vcc, v15, v5, vcc
	v_cmp_gt_i64_e32 vcc, s[24:25], v[52:53]
	s_and_saveexec_b64 s[40:41], vcc
	s_cbranch_execz .LBB13_8
; %bb.36:                               ;   in Loop: Header=BB13_9 Depth=1
	s_and_b64 vcc, exec, s[4:5]
	s_cbranch_vccnz .LBB13_42
; %bb.37:                               ;   in Loop: Header=BB13_9 Depth=1
	s_andn2_b64 vcc, exec, s[46:47]
	s_cbranch_vccnz .LBB13_43
; %bb.38:                               ;   in Loop: Header=BB13_9 Depth=1
	s_mov_b32 s6, 0
	s_andn2_b64 vcc, exec, s[54:55]
	v_mov_b32_e32 v54, 0
	s_cbranch_vccnz .LBB13_44
; %bb.39:                               ;   in Loop: Header=BB13_9 Depth=1
	s_mov_b32 s80, 0
	v_mov_b32_e32 v54, 0
	s_mov_b64 s[42:43], s[34:35]
	s_mov_b64 s[78:79], s[48:49]
	v_mov_b32_e32 v5, v52
.LBB13_40:                              ;   Parent Loop BB13_9 Depth=1
                                        ; =>  This Inner Loop Header: Depth=2
	s_load_dwordx8 s[16:23], s[42:43], 0x4
	s_load_dwordx4 s[4:7], s[42:43], 0x24
	s_load_dwordx4 s[36:39], s[78:79], 0x0
	s_add_u32 s42, s42, 48
	s_addc_u32 s43, s43, 0
	s_waitcnt lgkmcnt(0)
	v_mul_hi_u32 v51, s17, v5
	v_add_u32_e32 v51, v5, v51
	v_lshrrev_b32_e32 v51, s18, v51
	v_mul_lo_u32 v53, v51, s16
	v_mul_hi_u32 v55, s20, v51
	v_sub_u32_e32 v5, v5, v53
	v_add_u32_e32 v53, v51, v55
	v_lshrrev_b32_e32 v53, s21, v53
	v_mul_lo_u32 v55, v53, s19
	v_mul_hi_u32 v85, s23, v53
	v_sub_u32_e32 v51, v51, v55
	v_add_u32_e32 v55, v53, v85
	v_mul_lo_u32 v5, v5, s36
	v_mul_lo_u32 v51, v51, s37
	v_lshrrev_b32_e32 v55, s4, v55
	v_add3_u32 v51, v5, v54, v51
	v_mul_lo_u32 v5, v55, s22
	v_mul_hi_u32 v54, s6, v55
	v_sub_u32_e32 v5, v53, v5
	v_add_u32_e32 v53, v55, v54
	v_mul_lo_u32 v54, v5, s38
	v_lshrrev_b32_e32 v5, s7, v53
	s_add_i32 s80, s80, 4
	v_mul_lo_u32 v53, v5, s5
	s_add_u32 s78, s78, 16
	v_sub_u32_e32 v53, v55, v53
	s_addc_u32 s79, s79, 0
	v_mul_lo_u32 v53, v53, s39
	s_cmp_eq_u32 s15, s80
	v_add3_u32 v54, v54, v51, v53
	s_cbranch_scc0 .LBB13_40
; %bb.41:                               ;   in Loop: Header=BB13_9 Depth=1
	s_mov_b32 s6, s15
	s_andn2_b64 vcc, exec, s[58:59]
	s_cbranch_vccz .LBB13_45
	s_branch .LBB13_47
.LBB13_42:                              ;   in Loop: Header=BB13_9 Depth=1
                                        ; implicit-def: $vgpr54
	s_branch .LBB13_48
.LBB13_43:                              ;   in Loop: Header=BB13_9 Depth=1
	v_mov_b32_e32 v54, 0
	s_branch .LBB13_47
.LBB13_44:                              ;   in Loop: Header=BB13_9 Depth=1
	v_mov_b32_e32 v5, v52
	s_andn2_b64 vcc, exec, s[58:59]
	s_cbranch_vccnz .LBB13_47
.LBB13_45:                              ;   in Loop: Header=BB13_9 Depth=1
	s_lshl_b32 s4, s6, 2
	s_add_u32 s4, s48, s4
	s_addc_u32 s5, s49, 0
	s_mul_i32 s6, s6, 12
	s_add_u32 s6, s34, s6
	s_addc_u32 s7, s35, 0
	s_mov_b32 s16, s13
.LBB13_46:                              ;   Parent Loop BB13_9 Depth=1
                                        ; =>  This Inner Loop Header: Depth=2
	s_load_dwordx2 s[18:19], s[6:7], 0x4
	s_load_dword s17, s[6:7], 0xc
	s_load_dword s20, s[4:5], 0x0
	s_add_u32 s6, s6, 12
	s_addc_u32 s7, s7, 0
	s_waitcnt lgkmcnt(0)
	v_mul_hi_u32 v51, s19, v5
	v_add_u32_e32 v51, v5, v51
	v_lshrrev_b32_e32 v51, s17, v51
	s_add_u32 s4, s4, 4
	v_mul_lo_u32 v53, v51, s18
	s_addc_u32 s5, s5, 0
	s_add_i32 s16, s16, -1
	v_sub_u32_e32 v53, v5, v53
	s_cmp_lg_u32 s16, 0
	v_mov_b32_e32 v5, v51
	v_mad_u64_u32 v[54:55], s[18:19], v53, s20, v[54:55]
	s_cbranch_scc1 .LBB13_46
.LBB13_47:                              ;   in Loop: Header=BB13_9 Depth=1
	s_cbranch_execnz .LBB13_7
.LBB13_48:                              ;   in Loop: Header=BB13_9 Depth=1
	v_mul_hi_u32 v5, v52, s10
	v_add_u32_e32 v5, v5, v52
	v_lshrrev_b32_e32 v5, s11, v5
	v_mul_lo_u32 v51, v5, s9
	v_sub_u32_e32 v51, v52, v51
	s_andn2_b64 vcc, exec, s[50:51]
	s_waitcnt lgkmcnt(0)
	v_mul_lo_u32 v54, v51, s52
	s_cbranch_vccnz .LBB13_7
; %bb.49:                               ;   in Loop: Header=BB13_9 Depth=1
	v_mul_hi_u32 v51, s8, v5
	v_add_u32_e32 v51, v5, v51
	v_lshrrev_b32_e32 v51, s14, v51
	v_mul_lo_u32 v51, v51, s12
	v_sub_u32_e32 v5, v5, v51
	v_mad_u64_u32 v[54:55], s[4:5], v5, s53, v[54:55]
	s_branch .LBB13_7
.LBB13_50:
	s_endpgm
.LBB13_51:
                                        ; implicit-def: $sgpr2_sgpr3
	s_andn2_b64 vcc, exec, s[0:1]
	s_cbranch_vccz .LBB13_4
	s_branch .LBB13_5
	.section	.rodata,"a",@progbits
	.p2align	6, 0x0
	.amdhsa_kernel _ZN2at6native12_GLOBAL__N_143distribution_elementwise_grid_stride_kernelIfLi4EZNS0_9templates4cuda20normal_and_transformIN3c108BFloat16EfPNS_17CUDAGeneratorImplEZZZNS4_13normal_kernelIS9_EEvRKNS_10TensorBaseEddT_ENKUlvE_clEvENKUlvE2_clEvEUlfE_EEvRNS_18TensorIteratorBaseET1_T2_EUlP25hiprandStatePhilox4_32_10E_ZNS1_27distribution_nullary_kernelIS7_f15HIP_vector_typeIdLj2EES9_SO_SH_EEvSJ_SL_RKT3_T4_EUlifE0_EEvlNS_15PhiloxCudaStateESK_SL_
		.amdhsa_group_segment_fixed_size 0
		.amdhsa_private_segment_fixed_size 0
		.amdhsa_kernarg_size 584
		.amdhsa_user_sgpr_count 6
		.amdhsa_user_sgpr_private_segment_buffer 1
		.amdhsa_user_sgpr_dispatch_ptr 0
		.amdhsa_user_sgpr_queue_ptr 0
		.amdhsa_user_sgpr_kernarg_segment_ptr 1
		.amdhsa_user_sgpr_dispatch_id 0
		.amdhsa_user_sgpr_flat_scratch_init 0
		.amdhsa_user_sgpr_kernarg_preload_length 0
		.amdhsa_user_sgpr_kernarg_preload_offset 0
		.amdhsa_user_sgpr_private_segment_size 0
		.amdhsa_uses_dynamic_stack 0
		.amdhsa_system_sgpr_private_segment_wavefront_offset 0
		.amdhsa_system_sgpr_workgroup_id_x 1
		.amdhsa_system_sgpr_workgroup_id_y 0
		.amdhsa_system_sgpr_workgroup_id_z 0
		.amdhsa_system_sgpr_workgroup_info 0
		.amdhsa_system_vgpr_workitem_id 0
		.amdhsa_next_free_vgpr 96
		.amdhsa_next_free_sgpr 88
		.amdhsa_accum_offset 96
		.amdhsa_reserve_vcc 1
		.amdhsa_reserve_flat_scratch 0
		.amdhsa_float_round_mode_32 0
		.amdhsa_float_round_mode_16_64 0
		.amdhsa_float_denorm_mode_32 3
		.amdhsa_float_denorm_mode_16_64 3
		.amdhsa_dx10_clamp 1
		.amdhsa_ieee_mode 1
		.amdhsa_fp16_overflow 0
		.amdhsa_tg_split 0
		.amdhsa_exception_fp_ieee_invalid_op 0
		.amdhsa_exception_fp_denorm_src 0
		.amdhsa_exception_fp_ieee_div_zero 0
		.amdhsa_exception_fp_ieee_overflow 0
		.amdhsa_exception_fp_ieee_underflow 0
		.amdhsa_exception_fp_ieee_inexact 0
		.amdhsa_exception_int_div_zero 0
	.end_amdhsa_kernel
	.section	.text._ZN2at6native12_GLOBAL__N_143distribution_elementwise_grid_stride_kernelIfLi4EZNS0_9templates4cuda20normal_and_transformIN3c108BFloat16EfPNS_17CUDAGeneratorImplEZZZNS4_13normal_kernelIS9_EEvRKNS_10TensorBaseEddT_ENKUlvE_clEvENKUlvE2_clEvEUlfE_EEvRNS_18TensorIteratorBaseET1_T2_EUlP25hiprandStatePhilox4_32_10E_ZNS1_27distribution_nullary_kernelIS7_f15HIP_vector_typeIdLj2EES9_SO_SH_EEvSJ_SL_RKT3_T4_EUlifE0_EEvlNS_15PhiloxCudaStateESK_SL_,"axG",@progbits,_ZN2at6native12_GLOBAL__N_143distribution_elementwise_grid_stride_kernelIfLi4EZNS0_9templates4cuda20normal_and_transformIN3c108BFloat16EfPNS_17CUDAGeneratorImplEZZZNS4_13normal_kernelIS9_EEvRKNS_10TensorBaseEddT_ENKUlvE_clEvENKUlvE2_clEvEUlfE_EEvRNS_18TensorIteratorBaseET1_T2_EUlP25hiprandStatePhilox4_32_10E_ZNS1_27distribution_nullary_kernelIS7_f15HIP_vector_typeIdLj2EES9_SO_SH_EEvSJ_SL_RKT3_T4_EUlifE0_EEvlNS_15PhiloxCudaStateESK_SL_,comdat
.Lfunc_end13:
	.size	_ZN2at6native12_GLOBAL__N_143distribution_elementwise_grid_stride_kernelIfLi4EZNS0_9templates4cuda20normal_and_transformIN3c108BFloat16EfPNS_17CUDAGeneratorImplEZZZNS4_13normal_kernelIS9_EEvRKNS_10TensorBaseEddT_ENKUlvE_clEvENKUlvE2_clEvEUlfE_EEvRNS_18TensorIteratorBaseET1_T2_EUlP25hiprandStatePhilox4_32_10E_ZNS1_27distribution_nullary_kernelIS7_f15HIP_vector_typeIdLj2EES9_SO_SH_EEvSJ_SL_RKT3_T4_EUlifE0_EEvlNS_15PhiloxCudaStateESK_SL_, .Lfunc_end13-_ZN2at6native12_GLOBAL__N_143distribution_elementwise_grid_stride_kernelIfLi4EZNS0_9templates4cuda20normal_and_transformIN3c108BFloat16EfPNS_17CUDAGeneratorImplEZZZNS4_13normal_kernelIS9_EEvRKNS_10TensorBaseEddT_ENKUlvE_clEvENKUlvE2_clEvEUlfE_EEvRNS_18TensorIteratorBaseET1_T2_EUlP25hiprandStatePhilox4_32_10E_ZNS1_27distribution_nullary_kernelIS7_f15HIP_vector_typeIdLj2EES9_SO_SH_EEvSJ_SL_RKT3_T4_EUlifE0_EEvlNS_15PhiloxCudaStateESK_SL_
                                        ; -- End function
	.section	.AMDGPU.csdata,"",@progbits
; Kernel info:
; codeLenInByte = 4952
; NumSgprs: 92
; NumVgprs: 96
; NumAgprs: 0
; TotalNumVgprs: 96
; ScratchSize: 0
; MemoryBound: 0
; FloatMode: 240
; IeeeMode: 1
; LDSByteSize: 0 bytes/workgroup (compile time only)
; SGPRBlocks: 11
; VGPRBlocks: 11
; NumSGPRsForWavesPerEU: 92
; NumVGPRsForWavesPerEU: 96
; AccumOffset: 96
; Occupancy: 5
; WaveLimiterHint : 1
; COMPUTE_PGM_RSRC2:SCRATCH_EN: 0
; COMPUTE_PGM_RSRC2:USER_SGPR: 6
; COMPUTE_PGM_RSRC2:TRAP_HANDLER: 0
; COMPUTE_PGM_RSRC2:TGID_X_EN: 1
; COMPUTE_PGM_RSRC2:TGID_Y_EN: 0
; COMPUTE_PGM_RSRC2:TGID_Z_EN: 0
; COMPUTE_PGM_RSRC2:TIDIG_COMP_CNT: 0
; COMPUTE_PGM_RSRC3_GFX90A:ACCUM_OFFSET: 23
; COMPUTE_PGM_RSRC3_GFX90A:TG_SPLIT: 0
	.section	.text._ZN2at6native12_GLOBAL__N_143distribution_elementwise_grid_stride_kernelIfLi4EZNS0_9templates4cuda20normal_and_transformIN3c108BFloat16EfPNS_17CUDAGeneratorImplEZZZNS4_13normal_kernelIS9_EEvRKNS_10TensorBaseEddT_ENKUlvE_clEvENKUlvE2_clEvEUlfE_EEvRNS_18TensorIteratorBaseET1_T2_EUlP25hiprandStatePhilox4_32_10E0_ZNS1_27distribution_nullary_kernelIS7_f15HIP_vector_typeIfLj4EES9_SO_SH_EEvSJ_SL_RKT3_T4_EUlifE_EEvlNS_15PhiloxCudaStateESK_SL_,"axG",@progbits,_ZN2at6native12_GLOBAL__N_143distribution_elementwise_grid_stride_kernelIfLi4EZNS0_9templates4cuda20normal_and_transformIN3c108BFloat16EfPNS_17CUDAGeneratorImplEZZZNS4_13normal_kernelIS9_EEvRKNS_10TensorBaseEddT_ENKUlvE_clEvENKUlvE2_clEvEUlfE_EEvRNS_18TensorIteratorBaseET1_T2_EUlP25hiprandStatePhilox4_32_10E0_ZNS1_27distribution_nullary_kernelIS7_f15HIP_vector_typeIfLj4EES9_SO_SH_EEvSJ_SL_RKT3_T4_EUlifE_EEvlNS_15PhiloxCudaStateESK_SL_,comdat
	.globl	_ZN2at6native12_GLOBAL__N_143distribution_elementwise_grid_stride_kernelIfLi4EZNS0_9templates4cuda20normal_and_transformIN3c108BFloat16EfPNS_17CUDAGeneratorImplEZZZNS4_13normal_kernelIS9_EEvRKNS_10TensorBaseEddT_ENKUlvE_clEvENKUlvE2_clEvEUlfE_EEvRNS_18TensorIteratorBaseET1_T2_EUlP25hiprandStatePhilox4_32_10E0_ZNS1_27distribution_nullary_kernelIS7_f15HIP_vector_typeIfLj4EES9_SO_SH_EEvSJ_SL_RKT3_T4_EUlifE_EEvlNS_15PhiloxCudaStateESK_SL_ ; -- Begin function _ZN2at6native12_GLOBAL__N_143distribution_elementwise_grid_stride_kernelIfLi4EZNS0_9templates4cuda20normal_and_transformIN3c108BFloat16EfPNS_17CUDAGeneratorImplEZZZNS4_13normal_kernelIS9_EEvRKNS_10TensorBaseEddT_ENKUlvE_clEvENKUlvE2_clEvEUlfE_EEvRNS_18TensorIteratorBaseET1_T2_EUlP25hiprandStatePhilox4_32_10E0_ZNS1_27distribution_nullary_kernelIS7_f15HIP_vector_typeIfLj4EES9_SO_SH_EEvSJ_SL_RKT3_T4_EUlifE_EEvlNS_15PhiloxCudaStateESK_SL_
	.p2align	8
	.type	_ZN2at6native12_GLOBAL__N_143distribution_elementwise_grid_stride_kernelIfLi4EZNS0_9templates4cuda20normal_and_transformIN3c108BFloat16EfPNS_17CUDAGeneratorImplEZZZNS4_13normal_kernelIS9_EEvRKNS_10TensorBaseEddT_ENKUlvE_clEvENKUlvE2_clEvEUlfE_EEvRNS_18TensorIteratorBaseET1_T2_EUlP25hiprandStatePhilox4_32_10E0_ZNS1_27distribution_nullary_kernelIS7_f15HIP_vector_typeIfLj4EES9_SO_SH_EEvSJ_SL_RKT3_T4_EUlifE_EEvlNS_15PhiloxCudaStateESK_SL_,@function
_ZN2at6native12_GLOBAL__N_143distribution_elementwise_grid_stride_kernelIfLi4EZNS0_9templates4cuda20normal_and_transformIN3c108BFloat16EfPNS_17CUDAGeneratorImplEZZZNS4_13normal_kernelIS9_EEvRKNS_10TensorBaseEddT_ENKUlvE_clEvENKUlvE2_clEvEUlfE_EEvRNS_18TensorIteratorBaseET1_T2_EUlP25hiprandStatePhilox4_32_10E0_ZNS1_27distribution_nullary_kernelIS7_f15HIP_vector_typeIfLj4EES9_SO_SH_EEvSJ_SL_RKT3_T4_EUlifE_EEvlNS_15PhiloxCudaStateESK_SL_: ; @_ZN2at6native12_GLOBAL__N_143distribution_elementwise_grid_stride_kernelIfLi4EZNS0_9templates4cuda20normal_and_transformIN3c108BFloat16EfPNS_17CUDAGeneratorImplEZZZNS4_13normal_kernelIS9_EEvRKNS_10TensorBaseEddT_ENKUlvE_clEvENKUlvE2_clEvEUlfE_EEvRNS_18TensorIteratorBaseET1_T2_EUlP25hiprandStatePhilox4_32_10E0_ZNS1_27distribution_nullary_kernelIS7_f15HIP_vector_typeIfLj4EES9_SO_SH_EEvSJ_SL_RKT3_T4_EUlifE_EEvlNS_15PhiloxCudaStateESK_SL_
; %bb.0:
	s_load_dword s2, s[4:5], 0x20
	s_load_dwordx2 s[0:1], s[4:5], 0x10
	s_load_dwordx4 s[8:11], s[4:5], 0x0
	s_waitcnt lgkmcnt(0)
	s_bitcmp0_b32 s2, 0
	s_mov_b32 s2, 0
	v_pk_mov_b32 v[2:3], s[0:1], s[0:1] op_sel:[0,1]
	v_pk_mov_b32 v[14:15], s[10:11], s[10:11] op_sel:[0,1]
	s_cbranch_scc1 .LBB14_2
; %bb.1:
	v_pk_mov_b32 v[2:3], s[0:1], s[0:1] op_sel:[0,1]
	flat_load_dwordx2 v[2:3], v[2:3]
	v_pk_mov_b32 v[4:5], s[10:11], s[10:11] op_sel:[0,1]
	flat_load_dwordx2 v[14:15], v[4:5]
	s_load_dwordx2 s[0:1], s[4:5], 0x18
	s_waitcnt lgkmcnt(0)
	v_mov_b32_e32 v1, s1
	s_waitcnt vmcnt(0)
	v_add_co_u32_e32 v2, vcc, s0, v2
	v_addc_co_u32_e32 v3, vcc, v3, v1, vcc
.LBB14_2:
	s_load_dword s0, s[4:5], 0x54
	s_load_dword s25, s[4:5], 0x48
	s_waitcnt lgkmcnt(0)
	s_and_b32 s7, s0, 0xffff
	s_add_u32 s10, s8, -1
	s_mul_i32 s16, s25, s7
	s_addc_u32 s3, s9, -1
	s_lshl_b32 s17, s16, 2
	s_cmp_lg_u64 s[2:3], 0
	s_mov_b64 s[0:1], -1
	s_cbranch_scc0 .LBB14_27
; %bb.3:
	v_cvt_f32_u32_e32 v1, s17
	v_cvt_f32_ubyte0_e32 v4, 0
	s_sub_u32 s2, 0, s17
	s_subb_u32 s11, 0, 0
	v_madmk_f32 v1, v4, 0x4f800000, v1
	v_rcp_f32_e32 v1, v1
	v_mul_f32_e32 v1, 0x5f7ffffc, v1
	v_mul_f32_e32 v4, 0x2f800000, v1
	v_trunc_f32_e32 v4, v4
	v_madmk_f32 v1, v4, 0xcf800000, v1
	v_cvt_u32_f32_e32 v4, v4
	v_cvt_u32_f32_e32 v1, v1
	v_readfirstlane_b32 s12, v4
	v_readfirstlane_b32 s13, v1
	s_mul_i32 s14, s2, s12
	s_mul_hi_u32 s18, s2, s13
	s_mul_i32 s15, s11, s13
	s_add_i32 s14, s18, s14
	s_add_i32 s14, s14, s15
	s_mul_i32 s19, s2, s13
	s_mul_hi_u32 s15, s13, s14
	s_mul_i32 s18, s13, s14
	s_mul_hi_u32 s13, s13, s19
	s_add_u32 s13, s13, s18
	s_addc_u32 s15, 0, s15
	s_mul_hi_u32 s20, s12, s19
	s_mul_i32 s19, s12, s19
	s_add_u32 s13, s13, s19
	s_mul_hi_u32 s18, s12, s14
	s_addc_u32 s13, s15, s20
	s_addc_u32 s15, s18, 0
	s_mul_i32 s14, s12, s14
	s_add_u32 s13, s13, s14
	s_addc_u32 s14, 0, s15
	v_add_co_u32_e32 v1, vcc, s13, v1
	s_cmp_lg_u64 vcc, 0
	s_addc_u32 s12, s12, s14
	v_readfirstlane_b32 s14, v1
	s_mul_i32 s13, s2, s12
	s_mul_hi_u32 s15, s2, s14
	s_add_i32 s13, s15, s13
	s_mul_i32 s11, s11, s14
	s_add_i32 s13, s13, s11
	s_mul_i32 s2, s2, s14
	s_mul_hi_u32 s15, s12, s2
	s_mul_i32 s18, s12, s2
	s_mul_i32 s20, s14, s13
	s_mul_hi_u32 s2, s14, s2
	s_mul_hi_u32 s19, s14, s13
	s_add_u32 s2, s2, s20
	s_addc_u32 s14, 0, s19
	s_add_u32 s2, s2, s18
	s_mul_hi_u32 s11, s12, s13
	s_addc_u32 s2, s14, s15
	s_addc_u32 s11, s11, 0
	s_mul_i32 s13, s12, s13
	s_add_u32 s2, s2, s13
	s_addc_u32 s11, 0, s11
	v_add_co_u32_e32 v1, vcc, s2, v1
	s_cmp_lg_u64 vcc, 0
	s_addc_u32 s11, s12, s11
	s_ashr_i32 s12, s3, 31
	s_add_u32 s2, s10, s12
	s_mov_b32 s13, s12
	s_addc_u32 s3, s3, s12
	s_xor_b64 s[2:3], s[2:3], s[12:13]
	v_readfirstlane_b32 s18, v1
	s_mul_i32 s15, s2, s11
	s_mul_hi_u32 s19, s2, s18
	s_mul_hi_u32 s14, s2, s11
	s_add_u32 s15, s19, s15
	s_addc_u32 s14, 0, s14
	s_mul_hi_u32 s20, s3, s18
	s_mul_i32 s18, s3, s18
	s_add_u32 s15, s15, s18
	s_mul_hi_u32 s19, s3, s11
	s_addc_u32 s14, s14, s20
	s_addc_u32 s15, s19, 0
	s_mul_i32 s11, s3, s11
	s_add_u32 s11, s14, s11
	s_addc_u32 s14, 0, s15
	s_add_u32 s15, s11, 1
	s_addc_u32 s18, s14, 0
	s_add_u32 s19, s11, 2
	s_mul_i32 s21, s17, s14
	s_mul_hi_u32 s22, s17, s11
	s_addc_u32 s20, s14, 0
	s_add_i32 s22, s22, s21
	s_mul_i32 s21, s17, s11
	v_mov_b32_e32 v1, s21
	v_sub_co_u32_e32 v1, vcc, s2, v1
	s_cmp_lg_u64 vcc, 0
	s_subb_u32 s2, s3, s22
	v_subrev_co_u32_e32 v4, vcc, s17, v1
	s_cmp_lg_u64 vcc, 0
	s_subb_u32 s3, s2, 0
	v_readfirstlane_b32 s21, v4
	s_cmp_ge_u32 s21, s17
	s_cselect_b32 s21, -1, 0
	s_cmp_eq_u32 s3, 0
	s_cselect_b32 s3, s21, -1
	s_cmp_lg_u32 s3, 0
	s_cselect_b32 s3, s20, s18
	v_readfirstlane_b32 s18, v1
	s_cselect_b32 s15, s19, s15
	s_cmp_ge_u32 s18, s17
	s_cselect_b32 s18, -1, 0
	s_cmp_eq_u32 s2, 0
	s_cselect_b32 s2, s18, -1
	s_cmp_lg_u32 s2, 0
	s_cselect_b32 s3, s3, s14
	s_cselect_b32 s2, s15, s11
	s_xor_b64 s[2:3], s[2:3], s[12:13]
	s_sub_u32 s2, s2, s12
	s_subb_u32 s3, s3, s12
	s_cbranch_execnz .LBB14_5
.LBB14_4:
	v_cvt_f32_u32_e32 v1, s17
	s_sub_i32 s0, 0, s17
	s_mov_b32 s3, 0
	v_rcp_iflag_f32_e32 v1, v1
	v_mul_f32_e32 v1, 0x4f7ffffe, v1
	v_cvt_u32_f32_e32 v1, v1
	v_readfirstlane_b32 s1, v1
	s_mul_i32 s0, s0, s1
	s_mul_hi_u32 s0, s1, s0
	s_add_i32 s1, s1, s0
	s_mul_hi_u32 s0, s10, s1
	s_mul_i32 s2, s0, s17
	s_sub_i32 s2, s10, s2
	s_add_i32 s1, s0, 1
	s_sub_i32 s10, s2, s17
	s_cmp_ge_u32 s2, s17
	s_cselect_b32 s0, s1, s0
	s_cselect_b32 s2, s10, s2
	s_add_i32 s1, s0, 1
	s_cmp_ge_u32 s2, s17
	s_cselect_b32 s2, s1, s0
.LBB14_5:
	v_mov_b32_e32 v1, 0
	v_mov_b32_e32 v4, s6
	v_mad_u64_u32 v[16:17], s[0:1], s7, v4, v[0:1]
	s_add_u32 s0, s2, 1
	s_addc_u32 s1, s3, 0
	s_mul_hi_u32 s2, s25, s7
	s_mul_i32 s1, s16, s1
	s_mul_hi_u32 s3, s16, s0
	s_add_i32 s1, s3, s1
	s_mul_i32 s2, s2, s0
	s_add_i32 s1, s1, s2
	s_mul_i32 s0, s16, s0
	s_lshl_b64 s[2:3], s[0:1], 2
	v_cmp_gt_i64_e32 vcc, s[2:3], v[16:17]
	s_and_saveexec_b64 s[0:1], vcc
	s_cbranch_execz .LBB14_26
; %bb.6:
	s_mov_b32 s0, 0x5384540f
	v_mov_b32_e32 v4, v15
	v_add_co_u32_e32 v22, vcc, s0, v14
	s_mov_b32 s0, 0x646e171e
	v_add_co_u32_e32 v23, vcc, s0, v4
	s_mov_b32 s0, 0x1715609d
	;; [unrolled: 2-line block ×6, first 2 shown]
	v_alignbit_b32 v29, v3, v2, 2
	s_mov_b32 s18, 0xd2511f53
	v_add_co_u32_e32 v28, vcc, s0, v14
	v_mad_u64_u32 v[6:7], s[0:1], v29, s18, 0
	v_xor_b32_e32 v1, v7, v15
	v_xor_b32_e32 v1, v1, v17
	s_mov_b32 s19, 0xcd9e8d57
	v_mad_u64_u32 v[8:9], s[0:1], v1, s19, 0
	v_xor_b32_e32 v1, v28, v9
	v_mad_u64_u32 v[10:11], s[0:1], v16, s19, 0
	v_and_b32_e32 v18, 3, v2
	v_xor_b32_e32 v1, v1, v10
	v_xor_b32_e32 v2, v14, v11
	v_lshrrev_b32_e32 v30, 2, v3
	v_mad_u64_u32 v[12:13], s[0:1], v1, s18, 0
	v_xor_b32_e32 v2, v2, v30
	v_xor_b32_e32 v1, v27, v13
	v_mad_u64_u32 v[2:3], s[0:1], v2, s18, 0
	v_xor_b32_e32 v1, v1, v2
	v_mad_u64_u32 v[10:11], s[0:1], v1, s19, 0
	s_mov_b32 s0, 0xbb67ae85
	v_add_co_u32_e32 v31, vcc, s0, v4
	v_xor_b32_e32 v2, v31, v3
	v_xor_b32_e32 v2, v2, v6
	v_xor_b32_e32 v1, v26, v11
	v_mad_u64_u32 v[2:3], s[0:1], v2, s19, 0
	v_xor_b32_e32 v1, v1, v2
	v_mad_u64_u32 v[6:7], s[0:1], v1, s18, 0
	s_mov_b32 s0, 0x3c6ef372
	v_add_co_u32_e32 v32, vcc, s0, v14
	v_xor_b32_e32 v2, v32, v3
	v_xor_b32_e32 v2, v2, v8
	v_xor_b32_e32 v1, v25, v7
	v_mad_u64_u32 v[2:3], s[0:1], v2, s18, 0
	v_xor_b32_e32 v1, v1, v2
	v_mad_u64_u32 v[8:9], s[0:1], v1, s19, 0
	s_mov_b32 s0, 0x32370b8f
	v_add_co_u32_e32 v33, vcc, s0, v4
	v_xor_b32_e32 v2, v33, v3
	v_xor_b32_e32 v2, v2, v12
	v_xor_b32_e32 v1, v24, v9
	v_mad_u64_u32 v[2:3], s[0:1], v2, s19, 0
	v_xor_b32_e32 v1, v1, v2
	v_mad_u64_u32 v[12:13], s[0:1], v1, s18, 0
	s_mov_b32 s0, 0x78dde6e4
	v_add_co_u32_e32 v34, vcc, s0, v14
	v_xor_b32_e32 v2, v34, v3
	v_xor_b32_e32 v2, v2, v10
	v_xor_b32_e32 v1, v23, v13
	v_mad_u64_u32 v[2:3], s[0:1], v2, s18, 0
	v_xor_b32_e32 v1, v1, v2
	v_mad_u64_u32 v[10:11], s[0:1], v1, s19, 0
	s_mov_b32 s0, 0xa9066899
	v_add_co_u32_e32 v35, vcc, s0, v4
	v_xor_b32_e32 v2, v35, v3
	v_xor_b32_e32 v2, v2, v6
	v_xor_b32_e32 v1, v22, v11
	v_mad_u64_u32 v[2:3], s[0:1], v2, s19, 0
	v_xor_b32_e32 v1, v1, v2
	v_mad_u64_u32 v[6:7], s[0:1], v1, s18, 0
	s_mov_b32 s0, 0xb54cda56
	v_add_co_u32_e32 v36, vcc, s0, v14
	v_xor_b32_e32 v2, v36, v3
	v_add_co_u32_e32 v21, vcc, 0xdb3d7428, v4
	v_xor_b32_e32 v2, v2, v8
	v_xor_b32_e32 v1, v21, v7
	v_mad_u64_u32 v[2:3], s[0:1], v2, s18, 0
	v_xor_b32_e32 v1, v1, v2
	v_mad_u64_u32 v[8:9], s[0:1], v1, s19, 0
	s_mov_b32 s0, 0x1fd5c5a3
	v_add_co_u32_e32 v37, vcc, s0, v4
	v_xor_b32_e32 v1, v37, v3
	v_xor_b32_e32 v1, v1, v12
	v_mad_u64_u32 v[2:3], s[0:1], v1, s19, 0
	s_mov_b32 s0, 0xf1bbcdc8
	v_add_u32_e32 v19, 0x8ff34781, v14
	v_xor_b32_e32 v1, v9, v2
	v_add_co_u32_e32 v38, vcc, s0, v14
	s_load_dwordx4 s[12:15], s[4:5], 0x38
	s_load_dwordx2 s[10:11], s[4:5], 0x30
	v_xor_b32_e32 v2, v19, v1
	v_xor_b32_e32 v1, v38, v3
	;; [unrolled: 1-line block ×3, first 2 shown]
	v_mad_u64_u32 v[10:11], s[0:1], v1, s18, 0
	v_add_u32_e32 v20, 0x96a522ad, v15
	v_xor_b32_e32 v1, v11, v6
	s_mul_i32 s0, s6, s7
	v_xor_b32_e32 v4, v20, v1
	v_add_u32_e32 v1, s0, v0
	s_waitcnt lgkmcnt(0)
	s_mul_i32 s0, s25, s12
	s_mul_i32 s0, s0, s7
	s_lshl_b32 s24, s0, 2
	s_mul_i32 s0, s25, 3
	s_add_i32 s0, s6, s0
	s_mul_i32 s0, s0, s7
	v_mul_lo_u32 v39, s12, v1
	v_add_u32_e32 v1, s0, v0
	s_lshl_b32 s0, s25, 1
	s_add_i32 s0, s6, s0
	s_mul_i32 s0, s0, s7
	v_mul_lo_u32 v40, s12, v1
	v_add_u32_e32 v1, s0, v0
	s_add_i32 s0, s6, s25
	s_mul_i32 s0, s0, s7
	s_mov_b32 s15, 0
	v_add_u32_e32 v0, s0, v0
	v_mov_b32_e32 v3, v8
	v_mov_b32_e32 v5, v10
	s_lshl_b32 s20, s16, 1
	s_mov_b32 s21, s15
	s_mul_i32 s22, s16, 3
	s_mov_b32 s23, s15
	v_mul_lo_u32 v41, s12, v1
	v_mul_lo_u32 v42, s12, v0
	s_mov_b64 s[4:5], 0
	s_mov_b32 s12, 0x800000
	s_mov_b32 s25, 0x3f317217
	;; [unrolled: 1-line block ×4, first 2 shown]
	v_mov_b32_e32 v43, 0x260
	s_movk_i32 s28, 0x7fff
	v_mov_b32_e32 v44, 0x4f800000
	v_mov_b32_e32 v45, 0x41b17218
	;; [unrolled: 1-line block ×3, first 2 shown]
	s_mov_b32 s29, s15
	v_mov_b32_e32 v47, v16
	v_mov_b32_e32 v48, v17
	s_branch .LBB14_8
.LBB14_7:                               ;   in Loop: Header=BB14_8 Depth=1
	s_or_b64 exec, exec, s[0:1]
	v_add_co_u32_e32 v16, vcc, s17, v16
	v_addc_co_u32_e32 v17, vcc, 0, v17, vcc
	v_mov_b32_e32 v9, v0
	s_add_i32 s29, s29, s24
	v_cmp_le_i64_e32 vcc, s[2:3], v[16:17]
	v_pk_mov_b32 v[2:3], v[6:7], v[6:7] op_sel:[0,1]
	s_or_b64 s[4:5], vcc, s[4:5]
	v_pk_mov_b32 v[4:5], v[8:9], v[8:9] op_sel:[0,1]
	s_barrier
	s_andn2_b64 exec, exec, s[4:5]
	s_cbranch_execz .LBB14_26
.LBB14_8:                               ; =>This Inner Loop Header: Depth=1
	v_add_co_u32_e32 v29, vcc, 1, v29
	v_cndmask_b32_e64 v0, 0, 1, vcc
	v_addc_co_u32_e32 v30, vcc, 0, v30, vcc
	v_cmp_eq_u32_e32 vcc, 0, v30
	v_cndmask_b32_e32 v0, 0, v0, vcc
	v_add_u32_e32 v47, v0, v47
	v_cmp_eq_u32_e32 vcc, 0, v47
	v_cndmask_b32_e32 v0, 0, v0, vcc
	v_add_u32_e32 v48, v0, v48
	v_mad_u64_u32 v[0:1], s[0:1], v29, s18, 0
	v_mad_u64_u32 v[6:7], s[0:1], v47, s19, 0
	v_xor_b32_e32 v1, v1, v15
	v_xor_b32_e32 v7, v7, v14
	v_xor_b32_e32 v1, v48, v1
	v_xor_b32_e32 v7, v30, v7
	v_mad_u64_u32 v[10:11], s[0:1], v1, s19, 0
	v_mad_u64_u32 v[8:9], s[0:1], v7, s18, 0
	v_xor_b32_e32 v1, v28, v11
	v_xor_b32_e32 v1, v1, v6
	v_xor_b32_e32 v6, v31, v9
	v_xor_b32_e32 v6, v6, v0
	v_mad_u64_u32 v[0:1], s[0:1], v1, s18, 0
	v_mad_u64_u32 v[6:7], s[0:1], v6, s19, 0
	v_xor_b32_e32 v1, v27, v1
	v_xor_b32_e32 v7, v32, v7
	v_xor_b32_e32 v1, v1, v8
	v_xor_b32_e32 v7, v7, v10
	v_mad_u64_u32 v[10:11], s[0:1], v1, s19, 0
	v_mad_u64_u32 v[8:9], s[0:1], v7, s18, 0
	v_xor_b32_e32 v1, v26, v11
	v_xor_b32_e32 v1, v1, v6
	v_xor_b32_e32 v6, v33, v9
	v_xor_b32_e32 v6, v6, v0
	v_mad_u64_u32 v[0:1], s[0:1], v1, s18, 0
	v_mad_u64_u32 v[6:7], s[0:1], v6, s19, 0
	v_xor_b32_e32 v1, v25, v1
	v_xor_b32_e32 v7, v34, v7
	v_xor_b32_e32 v1, v1, v8
	v_xor_b32_e32 v7, v7, v10
	v_mad_u64_u32 v[10:11], s[0:1], v1, s19, 0
	v_mad_u64_u32 v[8:9], s[0:1], v7, s18, 0
	v_xor_b32_e32 v1, v24, v11
	v_xor_b32_e32 v1, v1, v6
	v_xor_b32_e32 v6, v35, v9
	v_xor_b32_e32 v6, v6, v0
	v_mad_u64_u32 v[0:1], s[0:1], v1, s18, 0
	v_mad_u64_u32 v[6:7], s[0:1], v6, s19, 0
	v_xor_b32_e32 v1, v23, v1
	v_xor_b32_e32 v7, v36, v7
	v_xor_b32_e32 v1, v1, v8
	v_xor_b32_e32 v7, v7, v10
	v_mad_u64_u32 v[10:11], s[0:1], v1, s19, 0
	v_mad_u64_u32 v[8:9], s[0:1], v7, s18, 0
	v_xor_b32_e32 v1, v22, v11
	v_xor_b32_e32 v1, v1, v6
	v_xor_b32_e32 v6, v37, v9
	v_xor_b32_e32 v0, v6, v0
	v_mad_u64_u32 v[6:7], s[0:1], v0, s19, 0
	v_mad_u64_u32 v[50:51], s[0:1], v1, s18, 0
	v_xor_b32_e32 v0, v38, v7
	v_xor_b32_e32 v0, v0, v10
	v_xor_b32_e32 v1, v21, v51
	v_xor_b32_e32 v7, v1, v8
	v_mad_u64_u32 v[0:1], s[0:1], v0, s18, 0
	v_mad_u64_u32 v[12:13], s[0:1], v7, s19, 0
	v_xor_b32_e32 v1, v1, v50
	v_xor_b32_e32 v6, v13, v6
	v_xor_b32_e32 v13, v20, v1
	v_xor_b32_e32 v6, v19, v6
	v_mov_b32_e32 v7, v12
	v_mov_b32_e32 v8, v13
	v_cmp_lt_i32_e32 vcc, 1, v18
	s_and_saveexec_b64 s[0:1], vcc
	s_xor_b64 s[0:1], exec, s[0:1]
	s_cbranch_execz .LBB14_14
; %bb.9:                                ;   in Loop: Header=BB14_8 Depth=1
	v_cmp_lt_i32_e32 vcc, 2, v18
	s_and_saveexec_b64 s[6:7], vcc
	s_xor_b64 s[6:7], exec, s[6:7]
; %bb.10:                               ;   in Loop: Header=BB14_8 Depth=1
	v_mov_b32_e32 v10, v5
	v_mov_b32_e32 v11, v6
	v_pk_mov_b32 v[2:3], v[10:11], v[10:11] op_sel:[0,1]
	v_pk_mov_b32 v[4:5], v[12:13], v[12:13] op_sel:[0,1]
                                        ; implicit-def: $vgpr12_vgpr13
; %bb.11:                               ;   in Loop: Header=BB14_8 Depth=1
	s_andn2_saveexec_b64 s[6:7], s[6:7]
; %bb.12:                               ;   in Loop: Header=BB14_8 Depth=1
	v_mov_b32_e32 v2, v4
	v_mov_b32_e32 v3, v5
	;; [unrolled: 1-line block ×4, first 2 shown]
; %bb.13:                               ;   in Loop: Header=BB14_8 Depth=1
	s_or_b64 exec, exec, s[6:7]
.LBB14_14:                              ;   in Loop: Header=BB14_8 Depth=1
	s_andn2_saveexec_b64 s[0:1], s[0:1]
	s_cbranch_execz .LBB14_18
; %bb.15:                               ;   in Loop: Header=BB14_8 Depth=1
	v_cmp_eq_u32_e32 vcc, 1, v18
	s_and_saveexec_b64 s[6:7], vcc
; %bb.16:                               ;   in Loop: Header=BB14_8 Depth=1
	v_mov_b32_e32 v2, v3
	v_mov_b32_e32 v3, v4
	;; [unrolled: 1-line block ×4, first 2 shown]
; %bb.17:                               ;   in Loop: Header=BB14_8 Depth=1
	s_or_b64 exec, exec, s[6:7]
.LBB14_18:                              ;   in Loop: Header=BB14_8 Depth=1
	s_or_b64 exec, exec, s[0:1]
	v_cvt_f32_u32_e32 v1, v2
	v_mov_b32_e32 v2, 0x2f800000
	v_fmac_f32_e32 v2, 0x2f800000, v1
	v_cmp_gt_f32_e32 vcc, s12, v2
	v_cndmask_b32_e32 v1, 1.0, v44, vcc
	v_mul_f32_e32 v1, v2, v1
	v_log_f32_e32 v1, v1
	v_cvt_f32_u32_e32 v2, v3
	v_cndmask_b32_e32 v3, 0, v45, vcc
	v_mul_f32_e32 v9, 0x3f317217, v1
	v_fma_f32 v10, v1, s25, -v9
	v_fmac_f32_e32 v10, 0x3377d1cf, v1
	v_add_f32_e32 v9, v9, v10
	v_cmp_lt_f32_e64 vcc, |v1|, s26
	v_cndmask_b32_e32 v1, v1, v9, vcc
	v_sub_f32_e32 v1, v1, v3
	v_mul_f32_e32 v1, -2.0, v1
	v_mul_f32_e32 v3, 0x4f800000, v1
	v_cmp_gt_f32_e32 vcc, s27, v1
	v_cndmask_b32_e32 v1, v1, v3, vcc
	v_sqrt_f32_e32 v3, v1
	v_mov_b32_e32 v9, 0x30c90fdb
	v_fmac_f32_e32 v9, 0x30c90fdb, v2
	v_add_u32_e32 v2, -1, v3
	v_fma_f32 v10, -v2, v3, v1
	v_cmp_ge_f32_e64 s[0:1], 0, v10
	v_add_u32_e32 v10, 1, v3
	v_cndmask_b32_e64 v2, v3, v2, s[0:1]
	v_fma_f32 v3, -v10, v3, v1
	v_cmp_lt_f32_e64 s[0:1], 0, v3
	v_cndmask_b32_e64 v2, v2, v10, s[0:1]
	v_mul_f32_e32 v3, 0x37800000, v2
	v_cndmask_b32_e32 v2, v2, v3, vcc
	v_cmp_class_f32_e32 vcc, v1, v43
	v_cndmask_b32_e32 v1, v2, v1, vcc
	v_cmp_gt_i64_e32 vcc, s[8:9], v[16:17]
	v_mul_f32_e32 v2, 0.15915494, v9
	s_and_saveexec_b64 s[0:1], vcc
	s_cbranch_execz .LBB14_20
; %bb.19:                               ;   in Loop: Header=BB14_8 Depth=1
	v_sin_f32_e32 v3, v2
	v_add_u32_e32 v9, s29, v39
	v_ashrrev_i32_e32 v12, 31, v9
	v_add_co_u32_e32 v10, vcc, s10, v9
	v_mul_f32_e32 v3, v3, v1
	v_mov_b32_e32 v9, s13
	v_fma_f32 v3, s14, v3, v9
	v_mov_b32_e32 v11, s11
	v_bfe_u32 v9, v3, 16, 1
	v_addc_co_u32_e32 v11, vcc, v11, v12, vcc
	v_add3_u32 v9, v3, v9, s28
	v_lshrrev_b32_e32 v9, 16, v9
	v_cmp_o_f32_e32 vcc, v3, v3
	v_cndmask_b32_e32 v3, v46, v9, vcc
	global_store_short v[10:11], v3, off
.LBB14_20:                              ;   in Loop: Header=BB14_8 Depth=1
	s_or_b64 exec, exec, s[0:1]
	v_mov_b32_e32 v3, s15
	v_add_co_u32_e32 v10, vcc, s16, v16
	v_addc_co_u32_e32 v11, vcc, v3, v17, vcc
	v_cmp_gt_i64_e32 vcc, s[8:9], v[10:11]
	s_and_saveexec_b64 s[0:1], vcc
	s_cbranch_execz .LBB14_22
; %bb.21:                               ;   in Loop: Header=BB14_8 Depth=1
	v_cos_f32_e32 v2, v2
	v_add_u32_e32 v3, s29, v42
	v_mov_b32_e32 v9, s11
	v_ashrrev_i32_e32 v10, 31, v3
	v_mul_f32_e32 v1, v2, v1
	v_add_co_u32_e32 v2, vcc, s10, v3
	v_addc_co_u32_e32 v3, vcc, v9, v10, vcc
	v_mov_b32_e32 v9, s13
	v_fma_f32 v1, s14, v1, v9
	v_bfe_u32 v9, v1, 16, 1
	v_add3_u32 v9, v1, v9, s28
	v_lshrrev_b32_e32 v9, 16, v9
	v_cmp_o_f32_e32 vcc, v1, v1
	v_cndmask_b32_e32 v1, v46, v9, vcc
	global_store_short v[2:3], v1, off
.LBB14_22:                              ;   in Loop: Header=BB14_8 Depth=1
	s_or_b64 exec, exec, s[0:1]
	v_cvt_f32_u32_e32 v1, v4
	v_mov_b32_e32 v2, 0x2f800000
	v_fmac_f32_e32 v2, 0x2f800000, v1
	v_cmp_gt_f32_e32 vcc, s12, v2
	v_cndmask_b32_e32 v1, 1.0, v44, vcc
	v_mul_f32_e32 v1, v2, v1
	v_log_f32_e32 v1, v1
	v_cvt_f32_u32_e32 v2, v5
	v_cndmask_b32_e32 v3, 0, v45, vcc
	v_mul_f32_e32 v4, 0x3f317217, v1
	v_fma_f32 v5, v1, s25, -v4
	v_fmac_f32_e32 v5, 0x3377d1cf, v1
	v_add_f32_e32 v4, v4, v5
	v_cmp_lt_f32_e64 vcc, |v1|, s26
	v_cndmask_b32_e32 v1, v1, v4, vcc
	v_sub_f32_e32 v1, v1, v3
	v_mul_f32_e32 v1, -2.0, v1
	v_mul_f32_e32 v3, 0x4f800000, v1
	v_cmp_gt_f32_e32 vcc, s27, v1
	v_cndmask_b32_e32 v1, v1, v3, vcc
	v_sqrt_f32_e32 v3, v1
	v_mov_b32_e32 v4, 0x30c90fdb
	v_fmac_f32_e32 v4, 0x30c90fdb, v2
	v_add_u32_e32 v2, -1, v3
	v_fma_f32 v5, -v2, v3, v1
	v_cmp_ge_f32_e64 s[0:1], 0, v5
	v_add_u32_e32 v5, 1, v3
	v_cndmask_b32_e64 v2, v3, v2, s[0:1]
	v_fma_f32 v3, -v5, v3, v1
	v_cmp_lt_f32_e64 s[0:1], 0, v3
	v_cndmask_b32_e64 v2, v2, v5, s[0:1]
	v_mul_f32_e32 v3, 0x37800000, v2
	v_cndmask_b32_e32 v2, v2, v3, vcc
	v_cmp_class_f32_e32 vcc, v1, v43
	v_cndmask_b32_e32 v1, v2, v1, vcc
	v_mov_b32_e32 v3, s21
	v_add_co_u32_e32 v2, vcc, s20, v16
	v_addc_co_u32_e32 v3, vcc, v3, v17, vcc
	v_cmp_gt_i64_e32 vcc, s[8:9], v[2:3]
	v_mul_f32_e32 v2, 0.15915494, v4
	s_and_saveexec_b64 s[0:1], vcc
	s_cbranch_execz .LBB14_24
; %bb.23:                               ;   in Loop: Header=BB14_8 Depth=1
	v_sin_f32_e32 v3, v2
	v_add_u32_e32 v4, s29, v41
	v_mov_b32_e32 v5, s11
	v_ashrrev_i32_e32 v9, 31, v4
	v_add_co_u32_e32 v4, vcc, s10, v4
	v_mul_f32_e32 v3, v3, v1
	v_addc_co_u32_e32 v5, vcc, v5, v9, vcc
	v_mov_b32_e32 v9, s13
	v_fma_f32 v3, s14, v3, v9
	v_bfe_u32 v9, v3, 16, 1
	v_add3_u32 v9, v3, v9, s28
	v_lshrrev_b32_e32 v9, 16, v9
	v_cmp_o_f32_e32 vcc, v3, v3
	v_cndmask_b32_e32 v3, v46, v9, vcc
	global_store_short v[4:5], v3, off
.LBB14_24:                              ;   in Loop: Header=BB14_8 Depth=1
	s_or_b64 exec, exec, s[0:1]
	v_mov_b32_e32 v3, s23
	v_add_co_u32_e32 v4, vcc, s22, v16
	v_addc_co_u32_e32 v5, vcc, v3, v17, vcc
	v_cmp_gt_i64_e32 vcc, s[8:9], v[4:5]
	s_and_saveexec_b64 s[0:1], vcc
	s_cbranch_execz .LBB14_7
; %bb.25:                               ;   in Loop: Header=BB14_8 Depth=1
	v_cos_f32_e32 v2, v2
	v_add_u32_e32 v3, s29, v40
	v_mov_b32_e32 v4, s11
	v_ashrrev_i32_e32 v5, 31, v3
	v_mul_f32_e32 v1, v2, v1
	v_add_co_u32_e32 v2, vcc, s10, v3
	v_addc_co_u32_e32 v3, vcc, v4, v5, vcc
	v_mov_b32_e32 v4, s13
	v_fma_f32 v1, s14, v1, v4
	v_bfe_u32 v4, v1, 16, 1
	v_add3_u32 v4, v1, v4, s28
	v_lshrrev_b32_e32 v4, 16, v4
	v_cmp_o_f32_e32 vcc, v1, v1
	v_cndmask_b32_e32 v1, v46, v4, vcc
	global_store_short v[2:3], v1, off
	s_branch .LBB14_7
.LBB14_26:
	s_endpgm
.LBB14_27:
                                        ; implicit-def: $sgpr2_sgpr3
	s_andn2_b64 vcc, exec, s[0:1]
	s_cbranch_vccz .LBB14_4
	s_branch .LBB14_5
	.section	.rodata,"a",@progbits
	.p2align	6, 0x0
	.amdhsa_kernel _ZN2at6native12_GLOBAL__N_143distribution_elementwise_grid_stride_kernelIfLi4EZNS0_9templates4cuda20normal_and_transformIN3c108BFloat16EfPNS_17CUDAGeneratorImplEZZZNS4_13normal_kernelIS9_EEvRKNS_10TensorBaseEddT_ENKUlvE_clEvENKUlvE2_clEvEUlfE_EEvRNS_18TensorIteratorBaseET1_T2_EUlP25hiprandStatePhilox4_32_10E0_ZNS1_27distribution_nullary_kernelIS7_f15HIP_vector_typeIfLj4EES9_SO_SH_EEvSJ_SL_RKT3_T4_EUlifE_EEvlNS_15PhiloxCudaStateESK_SL_
		.amdhsa_group_segment_fixed_size 0
		.amdhsa_private_segment_fixed_size 0
		.amdhsa_kernarg_size 328
		.amdhsa_user_sgpr_count 6
		.amdhsa_user_sgpr_private_segment_buffer 1
		.amdhsa_user_sgpr_dispatch_ptr 0
		.amdhsa_user_sgpr_queue_ptr 0
		.amdhsa_user_sgpr_kernarg_segment_ptr 1
		.amdhsa_user_sgpr_dispatch_id 0
		.amdhsa_user_sgpr_flat_scratch_init 0
		.amdhsa_user_sgpr_kernarg_preload_length 0
		.amdhsa_user_sgpr_kernarg_preload_offset 0
		.amdhsa_user_sgpr_private_segment_size 0
		.amdhsa_uses_dynamic_stack 0
		.amdhsa_system_sgpr_private_segment_wavefront_offset 0
		.amdhsa_system_sgpr_workgroup_id_x 1
		.amdhsa_system_sgpr_workgroup_id_y 0
		.amdhsa_system_sgpr_workgroup_id_z 0
		.amdhsa_system_sgpr_workgroup_info 0
		.amdhsa_system_vgpr_workitem_id 0
		.amdhsa_next_free_vgpr 52
		.amdhsa_next_free_sgpr 30
		.amdhsa_accum_offset 52
		.amdhsa_reserve_vcc 1
		.amdhsa_reserve_flat_scratch 0
		.amdhsa_float_round_mode_32 0
		.amdhsa_float_round_mode_16_64 0
		.amdhsa_float_denorm_mode_32 3
		.amdhsa_float_denorm_mode_16_64 3
		.amdhsa_dx10_clamp 1
		.amdhsa_ieee_mode 1
		.amdhsa_fp16_overflow 0
		.amdhsa_tg_split 0
		.amdhsa_exception_fp_ieee_invalid_op 0
		.amdhsa_exception_fp_denorm_src 0
		.amdhsa_exception_fp_ieee_div_zero 0
		.amdhsa_exception_fp_ieee_overflow 0
		.amdhsa_exception_fp_ieee_underflow 0
		.amdhsa_exception_fp_ieee_inexact 0
		.amdhsa_exception_int_div_zero 0
	.end_amdhsa_kernel
	.section	.text._ZN2at6native12_GLOBAL__N_143distribution_elementwise_grid_stride_kernelIfLi4EZNS0_9templates4cuda20normal_and_transformIN3c108BFloat16EfPNS_17CUDAGeneratorImplEZZZNS4_13normal_kernelIS9_EEvRKNS_10TensorBaseEddT_ENKUlvE_clEvENKUlvE2_clEvEUlfE_EEvRNS_18TensorIteratorBaseET1_T2_EUlP25hiprandStatePhilox4_32_10E0_ZNS1_27distribution_nullary_kernelIS7_f15HIP_vector_typeIfLj4EES9_SO_SH_EEvSJ_SL_RKT3_T4_EUlifE_EEvlNS_15PhiloxCudaStateESK_SL_,"axG",@progbits,_ZN2at6native12_GLOBAL__N_143distribution_elementwise_grid_stride_kernelIfLi4EZNS0_9templates4cuda20normal_and_transformIN3c108BFloat16EfPNS_17CUDAGeneratorImplEZZZNS4_13normal_kernelIS9_EEvRKNS_10TensorBaseEddT_ENKUlvE_clEvENKUlvE2_clEvEUlfE_EEvRNS_18TensorIteratorBaseET1_T2_EUlP25hiprandStatePhilox4_32_10E0_ZNS1_27distribution_nullary_kernelIS7_f15HIP_vector_typeIfLj4EES9_SO_SH_EEvSJ_SL_RKT3_T4_EUlifE_EEvlNS_15PhiloxCudaStateESK_SL_,comdat
.Lfunc_end14:
	.size	_ZN2at6native12_GLOBAL__N_143distribution_elementwise_grid_stride_kernelIfLi4EZNS0_9templates4cuda20normal_and_transformIN3c108BFloat16EfPNS_17CUDAGeneratorImplEZZZNS4_13normal_kernelIS9_EEvRKNS_10TensorBaseEddT_ENKUlvE_clEvENKUlvE2_clEvEUlfE_EEvRNS_18TensorIteratorBaseET1_T2_EUlP25hiprandStatePhilox4_32_10E0_ZNS1_27distribution_nullary_kernelIS7_f15HIP_vector_typeIfLj4EES9_SO_SH_EEvSJ_SL_RKT3_T4_EUlifE_EEvlNS_15PhiloxCudaStateESK_SL_, .Lfunc_end14-_ZN2at6native12_GLOBAL__N_143distribution_elementwise_grid_stride_kernelIfLi4EZNS0_9templates4cuda20normal_and_transformIN3c108BFloat16EfPNS_17CUDAGeneratorImplEZZZNS4_13normal_kernelIS9_EEvRKNS_10TensorBaseEddT_ENKUlvE_clEvENKUlvE2_clEvEUlfE_EEvRNS_18TensorIteratorBaseET1_T2_EUlP25hiprandStatePhilox4_32_10E0_ZNS1_27distribution_nullary_kernelIS7_f15HIP_vector_typeIfLj4EES9_SO_SH_EEvSJ_SL_RKT3_T4_EUlifE_EEvlNS_15PhiloxCudaStateESK_SL_
                                        ; -- End function
	.section	.AMDGPU.csdata,"",@progbits
; Kernel info:
; codeLenInByte = 2984
; NumSgprs: 34
; NumVgprs: 52
; NumAgprs: 0
; TotalNumVgprs: 52
; ScratchSize: 0
; MemoryBound: 0
; FloatMode: 240
; IeeeMode: 1
; LDSByteSize: 0 bytes/workgroup (compile time only)
; SGPRBlocks: 4
; VGPRBlocks: 6
; NumSGPRsForWavesPerEU: 34
; NumVGPRsForWavesPerEU: 52
; AccumOffset: 52
; Occupancy: 8
; WaveLimiterHint : 0
; COMPUTE_PGM_RSRC2:SCRATCH_EN: 0
; COMPUTE_PGM_RSRC2:USER_SGPR: 6
; COMPUTE_PGM_RSRC2:TRAP_HANDLER: 0
; COMPUTE_PGM_RSRC2:TGID_X_EN: 1
; COMPUTE_PGM_RSRC2:TGID_Y_EN: 0
; COMPUTE_PGM_RSRC2:TGID_Z_EN: 0
; COMPUTE_PGM_RSRC2:TIDIG_COMP_CNT: 0
; COMPUTE_PGM_RSRC3_GFX90A:ACCUM_OFFSET: 12
; COMPUTE_PGM_RSRC3_GFX90A:TG_SPLIT: 0
	.section	.text._ZN2at6native12_GLOBAL__N_143distribution_elementwise_grid_stride_kernelIfLi4EZNS0_9templates4cuda20normal_and_transformIN3c108BFloat16EfPNS_17CUDAGeneratorImplEZZZNS4_13normal_kernelIS9_EEvRKNS_10TensorBaseEddT_ENKUlvE_clEvENKUlvE2_clEvEUlfE_EEvRNS_18TensorIteratorBaseET1_T2_EUlP25hiprandStatePhilox4_32_10E0_ZNS1_27distribution_nullary_kernelIS7_f15HIP_vector_typeIfLj4EES9_SO_SH_EEvSJ_SL_RKT3_T4_EUlifE0_EEvlNS_15PhiloxCudaStateESK_SL_,"axG",@progbits,_ZN2at6native12_GLOBAL__N_143distribution_elementwise_grid_stride_kernelIfLi4EZNS0_9templates4cuda20normal_and_transformIN3c108BFloat16EfPNS_17CUDAGeneratorImplEZZZNS4_13normal_kernelIS9_EEvRKNS_10TensorBaseEddT_ENKUlvE_clEvENKUlvE2_clEvEUlfE_EEvRNS_18TensorIteratorBaseET1_T2_EUlP25hiprandStatePhilox4_32_10E0_ZNS1_27distribution_nullary_kernelIS7_f15HIP_vector_typeIfLj4EES9_SO_SH_EEvSJ_SL_RKT3_T4_EUlifE0_EEvlNS_15PhiloxCudaStateESK_SL_,comdat
	.globl	_ZN2at6native12_GLOBAL__N_143distribution_elementwise_grid_stride_kernelIfLi4EZNS0_9templates4cuda20normal_and_transformIN3c108BFloat16EfPNS_17CUDAGeneratorImplEZZZNS4_13normal_kernelIS9_EEvRKNS_10TensorBaseEddT_ENKUlvE_clEvENKUlvE2_clEvEUlfE_EEvRNS_18TensorIteratorBaseET1_T2_EUlP25hiprandStatePhilox4_32_10E0_ZNS1_27distribution_nullary_kernelIS7_f15HIP_vector_typeIfLj4EES9_SO_SH_EEvSJ_SL_RKT3_T4_EUlifE0_EEvlNS_15PhiloxCudaStateESK_SL_ ; -- Begin function _ZN2at6native12_GLOBAL__N_143distribution_elementwise_grid_stride_kernelIfLi4EZNS0_9templates4cuda20normal_and_transformIN3c108BFloat16EfPNS_17CUDAGeneratorImplEZZZNS4_13normal_kernelIS9_EEvRKNS_10TensorBaseEddT_ENKUlvE_clEvENKUlvE2_clEvEUlfE_EEvRNS_18TensorIteratorBaseET1_T2_EUlP25hiprandStatePhilox4_32_10E0_ZNS1_27distribution_nullary_kernelIS7_f15HIP_vector_typeIfLj4EES9_SO_SH_EEvSJ_SL_RKT3_T4_EUlifE0_EEvlNS_15PhiloxCudaStateESK_SL_
	.p2align	8
	.type	_ZN2at6native12_GLOBAL__N_143distribution_elementwise_grid_stride_kernelIfLi4EZNS0_9templates4cuda20normal_and_transformIN3c108BFloat16EfPNS_17CUDAGeneratorImplEZZZNS4_13normal_kernelIS9_EEvRKNS_10TensorBaseEddT_ENKUlvE_clEvENKUlvE2_clEvEUlfE_EEvRNS_18TensorIteratorBaseET1_T2_EUlP25hiprandStatePhilox4_32_10E0_ZNS1_27distribution_nullary_kernelIS7_f15HIP_vector_typeIfLj4EES9_SO_SH_EEvSJ_SL_RKT3_T4_EUlifE0_EEvlNS_15PhiloxCudaStateESK_SL_,@function
_ZN2at6native12_GLOBAL__N_143distribution_elementwise_grid_stride_kernelIfLi4EZNS0_9templates4cuda20normal_and_transformIN3c108BFloat16EfPNS_17CUDAGeneratorImplEZZZNS4_13normal_kernelIS9_EEvRKNS_10TensorBaseEddT_ENKUlvE_clEvENKUlvE2_clEvEUlfE_EEvRNS_18TensorIteratorBaseET1_T2_EUlP25hiprandStatePhilox4_32_10E0_ZNS1_27distribution_nullary_kernelIS7_f15HIP_vector_typeIfLj4EES9_SO_SH_EEvSJ_SL_RKT3_T4_EUlifE0_EEvlNS_15PhiloxCudaStateESK_SL_: ; @_ZN2at6native12_GLOBAL__N_143distribution_elementwise_grid_stride_kernelIfLi4EZNS0_9templates4cuda20normal_and_transformIN3c108BFloat16EfPNS_17CUDAGeneratorImplEZZZNS4_13normal_kernelIS9_EEvRKNS_10TensorBaseEddT_ENKUlvE_clEvENKUlvE2_clEvEUlfE_EEvRNS_18TensorIteratorBaseET1_T2_EUlP25hiprandStatePhilox4_32_10E0_ZNS1_27distribution_nullary_kernelIS7_f15HIP_vector_typeIfLj4EES9_SO_SH_EEvSJ_SL_RKT3_T4_EUlifE0_EEvlNS_15PhiloxCudaStateESK_SL_
; %bb.0:
	s_load_dword s2, s[4:5], 0x20
	s_load_dwordx2 s[0:1], s[4:5], 0x10
	s_load_dwordx4 s[24:27], s[4:5], 0x0
	s_waitcnt lgkmcnt(0)
	s_bitcmp0_b32 s2, 0
	s_mov_b32 s2, 0
	v_pk_mov_b32 v[2:3], s[0:1], s[0:1] op_sel:[0,1]
	v_pk_mov_b32 v[10:11], s[26:27], s[26:27] op_sel:[0,1]
	s_cbranch_scc1 .LBB15_2
; %bb.1:
	v_pk_mov_b32 v[2:3], s[0:1], s[0:1] op_sel:[0,1]
	flat_load_dwordx2 v[2:3], v[2:3]
	v_pk_mov_b32 v[4:5], s[26:27], s[26:27] op_sel:[0,1]
	flat_load_dwordx2 v[10:11], v[4:5]
	s_load_dwordx2 s[0:1], s[4:5], 0x18
	s_waitcnt lgkmcnt(0)
	v_mov_b32_e32 v1, s1
	s_waitcnt vmcnt(0)
	v_add_co_u32_e32 v2, vcc, s0, v2
	v_addc_co_u32_e32 v3, vcc, v3, v1, vcc
.LBB15_2:
	s_load_dword s0, s[4:5], 0x154
	s_load_dword s7, s[4:5], 0x148
	s_waitcnt lgkmcnt(0)
	s_and_b32 s8, s0, 0xffff
	s_add_u32 s9, s24, -1
	s_mul_i32 s33, s7, s8
	s_addc_u32 s3, s25, -1
	s_lshl_b32 s60, s33, 2
	s_cmp_lg_u64 s[2:3], 0
	s_mov_b64 s[0:1], -1
	s_cbranch_scc0 .LBB15_83
; %bb.3:
	v_cvt_f32_u32_e32 v1, s60
	v_cvt_f32_ubyte0_e32 v4, 0
	s_sub_u32 s2, 0, s60
	s_subb_u32 s10, 0, 0
	v_madmk_f32 v1, v4, 0x4f800000, v1
	v_rcp_f32_e32 v1, v1
	v_mul_f32_e32 v1, 0x5f7ffffc, v1
	v_mul_f32_e32 v4, 0x2f800000, v1
	v_trunc_f32_e32 v4, v4
	v_madmk_f32 v1, v4, 0xcf800000, v1
	v_cvt_u32_f32_e32 v4, v4
	v_cvt_u32_f32_e32 v1, v1
	v_readfirstlane_b32 s11, v4
	v_readfirstlane_b32 s12, v1
	s_mul_i32 s13, s2, s11
	s_mul_hi_u32 s15, s2, s12
	s_mul_i32 s14, s10, s12
	s_add_i32 s13, s15, s13
	s_add_i32 s13, s13, s14
	s_mul_i32 s16, s2, s12
	s_mul_hi_u32 s14, s12, s13
	s_mul_i32 s15, s12, s13
	s_mul_hi_u32 s12, s12, s16
	s_add_u32 s12, s12, s15
	s_addc_u32 s14, 0, s14
	s_mul_hi_u32 s17, s11, s16
	s_mul_i32 s16, s11, s16
	s_add_u32 s12, s12, s16
	s_mul_hi_u32 s15, s11, s13
	s_addc_u32 s12, s14, s17
	s_addc_u32 s14, s15, 0
	s_mul_i32 s13, s11, s13
	s_add_u32 s12, s12, s13
	s_addc_u32 s13, 0, s14
	v_add_co_u32_e32 v1, vcc, s12, v1
	s_cmp_lg_u64 vcc, 0
	s_addc_u32 s11, s11, s13
	v_readfirstlane_b32 s13, v1
	s_mul_i32 s12, s2, s11
	s_mul_hi_u32 s14, s2, s13
	s_add_i32 s12, s14, s12
	s_mul_i32 s10, s10, s13
	s_add_i32 s12, s12, s10
	s_mul_i32 s2, s2, s13
	s_mul_hi_u32 s14, s11, s2
	s_mul_i32 s15, s11, s2
	s_mul_i32 s17, s13, s12
	s_mul_hi_u32 s2, s13, s2
	s_mul_hi_u32 s16, s13, s12
	s_add_u32 s2, s2, s17
	s_addc_u32 s13, 0, s16
	s_add_u32 s2, s2, s15
	s_mul_hi_u32 s10, s11, s12
	s_addc_u32 s2, s13, s14
	s_addc_u32 s10, s10, 0
	s_mul_i32 s12, s11, s12
	s_add_u32 s2, s2, s12
	s_addc_u32 s10, 0, s10
	v_add_co_u32_e32 v1, vcc, s2, v1
	s_cmp_lg_u64 vcc, 0
	s_addc_u32 s12, s11, s10
	s_ashr_i32 s10, s3, 31
	s_add_u32 s2, s9, s10
	s_mov_b32 s11, s10
	s_addc_u32 s3, s3, s10
	s_xor_b64 s[2:3], s[2:3], s[10:11]
	v_readfirstlane_b32 s15, v1
	s_mul_i32 s14, s2, s12
	s_mul_hi_u32 s16, s2, s15
	s_mul_hi_u32 s13, s2, s12
	s_add_u32 s14, s16, s14
	s_addc_u32 s13, 0, s13
	s_mul_hi_u32 s17, s3, s15
	s_mul_i32 s15, s3, s15
	s_add_u32 s14, s14, s15
	s_mul_hi_u32 s16, s3, s12
	s_addc_u32 s13, s13, s17
	s_addc_u32 s14, s16, 0
	s_mul_i32 s12, s3, s12
	s_add_u32 s12, s13, s12
	s_addc_u32 s13, 0, s14
	s_add_u32 s14, s12, 1
	s_addc_u32 s15, s13, 0
	s_add_u32 s16, s12, 2
	s_mul_i32 s18, s60, s13
	s_mul_hi_u32 s19, s60, s12
	s_addc_u32 s17, s13, 0
	s_add_i32 s19, s19, s18
	s_mul_i32 s18, s60, s12
	v_mov_b32_e32 v1, s18
	v_sub_co_u32_e32 v1, vcc, s2, v1
	s_cmp_lg_u64 vcc, 0
	s_subb_u32 s2, s3, s19
	v_subrev_co_u32_e32 v4, vcc, s60, v1
	s_cmp_lg_u64 vcc, 0
	s_subb_u32 s3, s2, 0
	v_readfirstlane_b32 s18, v4
	s_cmp_ge_u32 s18, s60
	s_cselect_b32 s18, -1, 0
	s_cmp_eq_u32 s3, 0
	s_cselect_b32 s3, s18, -1
	s_cmp_lg_u32 s3, 0
	s_cselect_b32 s3, s17, s15
	v_readfirstlane_b32 s15, v1
	s_cselect_b32 s14, s16, s14
	s_cmp_ge_u32 s15, s60
	s_cselect_b32 s15, -1, 0
	s_cmp_eq_u32 s2, 0
	s_cselect_b32 s2, s15, -1
	s_cmp_lg_u32 s2, 0
	s_cselect_b32 s3, s3, s13
	s_cselect_b32 s2, s14, s12
	s_xor_b64 s[2:3], s[2:3], s[10:11]
	s_sub_u32 s2, s2, s10
	s_subb_u32 s3, s3, s10
	s_cbranch_execnz .LBB15_5
.LBB15_4:
	v_cvt_f32_u32_e32 v1, s60
	s_sub_i32 s0, 0, s60
	s_mov_b32 s3, 0
	v_rcp_iflag_f32_e32 v1, v1
	v_mul_f32_e32 v1, 0x4f7ffffe, v1
	v_cvt_u32_f32_e32 v1, v1
	v_readfirstlane_b32 s1, v1
	s_mul_i32 s0, s0, s1
	s_mul_hi_u32 s0, s1, s0
	s_add_i32 s1, s1, s0
	s_mul_hi_u32 s0, s9, s1
	s_mul_i32 s2, s0, s60
	s_sub_i32 s2, s9, s2
	s_add_i32 s1, s0, 1
	s_sub_i32 s9, s2, s60
	s_cmp_ge_u32 s2, s60
	s_cselect_b32 s0, s1, s0
	s_cselect_b32 s2, s9, s2
	s_add_i32 s1, s0, 1
	s_cmp_ge_u32 s2, s60
	s_cselect_b32 s2, s1, s0
.LBB15_5:
	v_mov_b32_e32 v1, 0
	v_mov_b32_e32 v4, s6
	v_mad_u64_u32 v[12:13], s[0:1], s8, v4, v[0:1]
	s_add_u32 s0, s2, 1
	s_addc_u32 s1, s3, 0
	s_mul_hi_u32 s2, s7, s8
	s_mul_i32 s1, s33, s1
	s_mul_hi_u32 s3, s33, s0
	s_add_i32 s1, s3, s1
	s_mul_i32 s2, s2, s0
	s_add_i32 s1, s1, s2
	s_mul_i32 s0, s33, s0
	s_lshl_b64 s[26:27], s[0:1], 2
	v_cmp_gt_i64_e32 vcc, s[26:27], v[12:13]
	s_and_saveexec_b64 s[0:1], vcc
	s_cbranch_execz .LBB15_82
; %bb.6:
	s_mov_b32 s0, 0x5384540f
	v_mov_b32_e32 v0, v11
	v_add_co_u32_e32 v20, vcc, s0, v10
	s_mov_b32 s0, 0x646e171e
	v_add_co_u32_e32 v21, vcc, s0, v0
	s_mov_b32 s0, 0x1715609d
	;; [unrolled: 2-line block ×6, first 2 shown]
	v_alignbit_b32 v27, v3, v2, 2
	s_mov_b32 s62, 0xd2511f53
	v_add_co_u32_e32 v26, vcc, s0, v10
	v_mad_u64_u32 v[4:5], s[0:1], v27, s62, 0
	v_xor_b32_e32 v1, v5, v11
	v_xor_b32_e32 v1, v1, v13
	s_mov_b32 s63, 0xcd9e8d57
	v_mad_u64_u32 v[6:7], s[0:1], v1, s63, 0
	v_xor_b32_e32 v1, v26, v7
	v_mad_u64_u32 v[8:9], s[0:1], v12, s63, 0
	v_and_b32_e32 v16, 3, v2
	v_xor_b32_e32 v1, v1, v8
	v_xor_b32_e32 v2, v10, v9
	v_lshrrev_b32_e32 v28, 2, v3
	v_mad_u64_u32 v[14:15], s[0:1], v1, s62, 0
	v_xor_b32_e32 v2, v2, v28
	v_xor_b32_e32 v1, v25, v15
	v_mad_u64_u32 v[2:3], s[0:1], v2, s62, 0
	v_xor_b32_e32 v1, v1, v2
	v_mad_u64_u32 v[8:9], s[0:1], v1, s63, 0
	s_mov_b32 s0, 0xbb67ae85
	v_add_co_u32_e32 v29, vcc, s0, v0
	v_xor_b32_e32 v2, v29, v3
	v_xor_b32_e32 v2, v2, v4
	v_xor_b32_e32 v1, v24, v9
	v_mad_u64_u32 v[2:3], s[0:1], v2, s63, 0
	v_xor_b32_e32 v1, v1, v2
	v_mad_u64_u32 v[4:5], s[0:1], v1, s62, 0
	s_mov_b32 s0, 0x3c6ef372
	v_add_co_u32_e32 v30, vcc, s0, v10
	v_xor_b32_e32 v2, v30, v3
	;; [unrolled: 8-line block ×6, first 2 shown]
	v_add_co_u32_e32 v19, vcc, 0xdb3d7428, v0
	v_xor_b32_e32 v2, v2, v6
	v_xor_b32_e32 v1, v19, v39
	v_mad_u64_u32 v[2:3], s[0:1], v2, s62, 0
	v_xor_b32_e32 v1, v1, v2
	v_mad_u64_u32 v[40:41], s[0:1], v1, s63, 0
	s_mov_b32 s0, 0x1fd5c5a3
	v_add_co_u32_e32 v35, vcc, s0, v0
	v_xor_b32_e32 v0, v35, v3
	v_xor_b32_e32 v0, v0, v14
	v_mad_u64_u32 v[0:1], s[0:1], v0, s63, 0
	s_mov_b32 s0, 0xf1bbcdc8
	s_load_dwordx8 s[8:15], s[4:5], 0x30
	v_add_u32_e32 v17, 0x8ff34781, v10
	v_xor_b32_e32 v0, v41, v0
	v_add_co_u32_e32 v36, vcc, s0, v10
	v_xor_b32_e32 v4, v17, v0
	v_xor_b32_e32 v0, v36, v1
	;; [unrolled: 1-line block ×3, first 2 shown]
	s_add_u32 s34, s4, 48
	v_mad_u64_u32 v[0:1], s[0:1], v0, s62, 0
	s_addc_u32 s35, s5, 0
	s_waitcnt lgkmcnt(0)
	s_add_i32 s0, s8, -1
	s_cmp_gt_u32 s0, 1
	s_cselect_b64 s[40:41], -1, 0
	s_cmp_lg_u32 s8, 0
	s_cselect_b64 s[42:43], -1, 0
	s_add_u32 s44, s4, 0xf4
	s_addc_u32 s45, s5, 0
	s_min_u32 s1, s0, 15
	s_cmp_gt_u32 s8, 1
	s_cselect_b64 s[46:47], -1, 0
	s_add_i32 s1, s1, 1
	s_mov_b32 s8, s13
	s_load_dwordx2 s[48:49], s[4:5], 0xf4
	s_load_dwordx4 s[28:31], s[4:5], 0x138
	s_lshl_b32 s13, s33, 1
	s_and_b32 s66, s1, 3
	s_cmp_lg_u32 s0, 2
	s_cselect_b64 s[50:51], -1, 0
	s_and_b32 s67, s1, 28
	s_mov_b32 s61, 0
	v_add_u32_e32 v18, 0x96a522ad, v11
	v_xor_b32_e32 v1, v1, v38
	s_cmp_lg_u32 s66, 0
	v_xor_b32_e32 v6, v18, v1
	v_mov_b32_e32 v5, v40
	v_mov_b32_e32 v7, v0
	s_mov_b32 s15, s61
	s_mul_i32 s64, s33, 3
	s_mov_b32 s65, s61
	s_mov_b64 s[52:53], 0
	s_cselect_b64 s[54:55], -1, 0
	s_mov_b32 s68, 0x800000
	s_mov_b32 s69, 0x3f317217
	;; [unrolled: 1-line block ×4, first 2 shown]
	v_mov_b32_e32 v37, 0x260
	s_movk_i32 s72, 0x7fff
	v_mov_b32_e32 v38, 0x4f800000
	v_mov_b32_e32 v39, 0x41b17218
	;; [unrolled: 1-line block ×5, first 2 shown]
	s_branch .LBB15_9
.LBB15_7:                               ;   in Loop: Header=BB15_9 Depth=1
	v_mul_f32_e32 v3, 0.15915494, v3
	v_cos_f32_e32 v3, v3
	s_waitcnt lgkmcnt(0)
	v_mov_b32_e32 v4, s30
	v_mul_f32_e32 v3, v3, v8
	v_fma_f32 v3, s31, v3, v4
	v_bfe_u32 v4, v3, 16, 1
	v_add3_u32 v4, v3, v4, s72
	v_lshrrev_b32_e32 v4, 16, v4
	v_cmp_o_f32_e32 vcc, v3, v3
	v_cndmask_b32_e32 v3, v40, v4, vcc
	global_store_short v6, v3, s[28:29]
.LBB15_8:                               ;   in Loop: Header=BB15_9 Depth=1
	s_or_b64 exec, exec, s[36:37]
	v_add_co_u32_e32 v12, vcc, s60, v12
	v_mov_b32_e32 v3, v14
	v_addc_co_u32_e32 v13, vcc, 0, v13, vcc
	v_cmp_le_i64_e32 vcc, s[26:27], v[12:13]
	v_pk_mov_b32 v[6:7], v[2:3], v[2:3] op_sel:[0,1]
	s_or_b64 s[52:53], vcc, s[52:53]
	v_pk_mov_b32 v[4:5], v[0:1], v[0:1] op_sel:[0,1]
	s_waitcnt lgkmcnt(0)
	s_barrier
	s_andn2_b64 exec, exec, s[52:53]
	s_cbranch_execz .LBB15_82
.LBB15_9:                               ; =>This Loop Header: Depth=1
                                        ;     Child Loop BB15_24 Depth 2
                                        ;     Child Loop BB15_30 Depth 2
	;; [unrolled: 1-line block ×8, first 2 shown]
	v_add_co_u32_e32 v27, vcc, 1, v27
	v_cndmask_b32_e64 v0, 0, 1, vcc
	v_addc_co_u32_e32 v28, vcc, 0, v28, vcc
	v_cmp_eq_u32_e32 vcc, 0, v28
	v_cndmask_b32_e32 v0, 0, v0, vcc
	v_add_u32_e32 v41, v0, v41
	v_cmp_eq_u32_e32 vcc, 0, v41
	v_cndmask_b32_e32 v0, 0, v0, vcc
	v_add_u32_e32 v42, v0, v42
	v_mad_u64_u32 v[0:1], s[0:1], v27, s62, 0
	v_mad_u64_u32 v[2:3], s[0:1], v41, s63, 0
	v_xor_b32_e32 v1, v1, v11
	v_xor_b32_e32 v3, v3, v10
	v_xor_b32_e32 v1, v42, v1
	v_xor_b32_e32 v3, v28, v3
	v_mad_u64_u32 v[14:15], s[0:1], v1, s63, 0
	v_mad_u64_u32 v[8:9], s[0:1], v3, s62, 0
	v_xor_b32_e32 v1, v26, v15
	v_xor_b32_e32 v1, v1, v2
	v_xor_b32_e32 v2, v29, v9
	v_xor_b32_e32 v2, v2, v0
	;; [unrolled: 6-line block ×10, first 2 shown]
	v_mov_b32_e32 v1, v8
	v_mov_b32_e32 v2, v9
	v_cmp_lt_i32_e32 vcc, 1, v16
	s_and_saveexec_b64 s[0:1], vcc
	s_xor_b64 s[0:1], exec, s[0:1]
	s_cbranch_execz .LBB15_15
; %bb.10:                               ;   in Loop: Header=BB15_9 Depth=1
	v_cmp_lt_i32_e32 vcc, 2, v16
	s_and_saveexec_b64 s[2:3], vcc
	s_xor_b64 s[2:3], exec, s[2:3]
; %bb.11:                               ;   in Loop: Header=BB15_9 Depth=1
	v_mov_b32_e32 v6, v7
	v_mov_b32_e32 v7, v0
	v_pk_mov_b32 v[4:5], v[6:7], v[6:7] op_sel:[0,1]
	v_pk_mov_b32 v[6:7], v[8:9], v[8:9] op_sel:[0,1]
                                        ; implicit-def: $vgpr8_vgpr9
; %bb.12:                               ;   in Loop: Header=BB15_9 Depth=1
	s_andn2_saveexec_b64 s[2:3], s[2:3]
; %bb.13:                               ;   in Loop: Header=BB15_9 Depth=1
	v_mov_b32_e32 v4, v6
	v_mov_b32_e32 v5, v7
	;; [unrolled: 1-line block ×4, first 2 shown]
; %bb.14:                               ;   in Loop: Header=BB15_9 Depth=1
	s_or_b64 exec, exec, s[2:3]
.LBB15_15:                              ;   in Loop: Header=BB15_9 Depth=1
	s_andn2_saveexec_b64 s[0:1], s[0:1]
	s_cbranch_execz .LBB15_19
; %bb.16:                               ;   in Loop: Header=BB15_9 Depth=1
	v_cmp_eq_u32_e32 vcc, 1, v16
	s_and_saveexec_b64 s[2:3], vcc
; %bb.17:                               ;   in Loop: Header=BB15_9 Depth=1
	v_mov_b32_e32 v4, v5
	v_mov_b32_e32 v5, v6
	;; [unrolled: 1-line block ×4, first 2 shown]
; %bb.18:                               ;   in Loop: Header=BB15_9 Depth=1
	s_or_b64 exec, exec, s[2:3]
.LBB15_19:                              ;   in Loop: Header=BB15_9 Depth=1
	s_or_b64 exec, exec, s[0:1]
	v_cvt_f32_u32_e32 v3, v4
	v_mov_b32_e32 v4, 0x2f800000
	v_fmac_f32_e32 v4, 0x2f800000, v3
	v_cmp_gt_f32_e32 vcc, s68, v4
	v_cndmask_b32_e32 v3, 1.0, v38, vcc
	v_mul_f32_e32 v3, v4, v3
	v_log_f32_e32 v3, v3
	v_cvt_f32_u32_e32 v4, v5
	v_cndmask_b32_e32 v5, 0, v39, vcc
	v_mul_f32_e32 v8, 0x3f317217, v3
	v_fma_f32 v9, v3, s69, -v8
	v_fmac_f32_e32 v9, 0x3377d1cf, v3
	v_add_f32_e32 v8, v8, v9
	v_cmp_lt_f32_e64 vcc, |v3|, s70
	v_cndmask_b32_e32 v3, v3, v8, vcc
	v_sub_f32_e32 v3, v3, v5
	v_mul_f32_e32 v3, -2.0, v3
	v_mul_f32_e32 v5, 0x4f800000, v3
	v_cmp_gt_f32_e32 vcc, s71, v3
	v_cndmask_b32_e32 v5, v3, v5, vcc
	v_sqrt_f32_e32 v8, v5
	v_mov_b32_e32 v3, 0x30c90fdb
	v_fmac_f32_e32 v3, 0x30c90fdb, v4
	v_add_u32_e32 v4, -1, v8
	v_fma_f32 v9, -v4, v8, v5
	v_cmp_ge_f32_e64 s[0:1], 0, v9
	v_add_u32_e32 v9, 1, v8
	v_cndmask_b32_e64 v4, v8, v4, s[0:1]
	v_fma_f32 v8, -v9, v8, v5
	v_cmp_lt_f32_e64 s[0:1], 0, v8
	v_cndmask_b32_e64 v4, v4, v9, s[0:1]
	v_mul_f32_e32 v8, 0x37800000, v4
	v_cndmask_b32_e32 v4, v4, v8, vcc
	v_cmp_class_f32_e32 vcc, v5, v37
	v_cndmask_b32_e32 v15, v4, v5, vcc
	v_cndmask_b32_e64 v4, 0, 1, s[40:41]
	v_cmp_gt_i64_e32 vcc, s[24:25], v[12:13]
	v_cmp_ne_u32_e64 s[0:1], 1, v4
	s_and_saveexec_b64 s[2:3], vcc
	s_cbranch_execz .LBB15_35
; %bb.20:                               ;   in Loop: Header=BB15_9 Depth=1
	s_and_b64 vcc, exec, s[0:1]
	s_cbranch_vccnz .LBB15_26
; %bb.21:                               ;   in Loop: Header=BB15_9 Depth=1
	s_andn2_b64 vcc, exec, s[42:43]
	s_cbranch_vccnz .LBB15_27
; %bb.22:                               ;   in Loop: Header=BB15_9 Depth=1
	s_mov_b32 s6, 0
	s_andn2_b64 vcc, exec, s[50:51]
	v_mov_b32_e32 v4, 0
	s_cbranch_vccnz .LBB15_28
; %bb.23:                               ;   in Loop: Header=BB15_9 Depth=1
	s_mov_b32 s73, 0
	v_mov_b32_e32 v4, 0
	s_mov_b64 s[56:57], s[34:35]
	s_mov_b64 s[58:59], s[44:45]
	v_mov_b32_e32 v8, v12
.LBB15_24:                              ;   Parent Loop BB15_9 Depth=1
                                        ; =>  This Inner Loop Header: Depth=2
	s_load_dwordx8 s[16:23], s[56:57], 0x4
	s_load_dwordx4 s[4:7], s[56:57], 0x24
	s_load_dwordx4 s[36:39], s[58:59], 0x0
	s_add_u32 s56, s56, 48
	s_addc_u32 s57, s57, 0
	s_waitcnt lgkmcnt(0)
	v_mul_hi_u32 v5, s17, v8
	v_add_u32_e32 v5, v8, v5
	v_lshrrev_b32_e32 v5, s18, v5
	v_mul_lo_u32 v9, v5, s16
	v_mul_hi_u32 v43, s20, v5
	v_sub_u32_e32 v8, v8, v9
	v_add_u32_e32 v9, v5, v43
	v_lshrrev_b32_e32 v9, s21, v9
	v_mul_lo_u32 v43, v9, s19
	v_mul_hi_u32 v44, s23, v9
	v_sub_u32_e32 v5, v5, v43
	v_add_u32_e32 v43, v9, v44
	v_mul_lo_u32 v8, v8, s36
	v_mul_lo_u32 v5, v5, s37
	v_lshrrev_b32_e32 v43, s4, v43
	v_add3_u32 v4, v8, v4, v5
	v_mul_hi_u32 v8, s6, v43
	v_add_u32_e32 v8, v43, v8
	v_mul_lo_u32 v5, v43, s22
	v_lshrrev_b32_e32 v8, s7, v8
	s_add_i32 s73, s73, 4
	v_sub_u32_e32 v5, v9, v5
	v_mul_lo_u32 v9, v8, s5
	s_add_u32 s58, s58, 16
	v_sub_u32_e32 v9, v43, v9
	s_addc_u32 s59, s59, 0
	v_mul_lo_u32 v5, v5, s38
	v_mul_lo_u32 v9, v9, s39
	s_cmp_lg_u32 s67, s73
	v_add3_u32 v4, v5, v4, v9
	s_cbranch_scc1 .LBB15_24
; %bb.25:                               ;   in Loop: Header=BB15_9 Depth=1
	s_mov_b32 s6, s67
	s_andn2_b64 vcc, exec, s[54:55]
	s_cbranch_vccz .LBB15_29
	s_branch .LBB15_31
.LBB15_26:                              ;   in Loop: Header=BB15_9 Depth=1
                                        ; implicit-def: $vgpr4
	s_branch .LBB15_32
.LBB15_27:                              ;   in Loop: Header=BB15_9 Depth=1
	v_mov_b32_e32 v4, 0
	s_branch .LBB15_31
.LBB15_28:                              ;   in Loop: Header=BB15_9 Depth=1
	v_mov_b32_e32 v8, v12
	s_andn2_b64 vcc, exec, s[54:55]
	s_cbranch_vccnz .LBB15_31
.LBB15_29:                              ;   in Loop: Header=BB15_9 Depth=1
	s_lshl_b32 s4, s6, 2
	s_add_u32 s4, s44, s4
	s_addc_u32 s5, s45, 0
	s_mul_i32 s6, s6, 12
	s_add_u32 s6, s34, s6
	s_addc_u32 s7, s35, 0
	s_mov_b32 s16, s66
.LBB15_30:                              ;   Parent Loop BB15_9 Depth=1
                                        ; =>  This Inner Loop Header: Depth=2
	s_load_dwordx2 s[18:19], s[6:7], 0x4
	s_load_dword s17, s[6:7], 0xc
	s_load_dword s20, s[4:5], 0x0
	s_add_u32 s6, s6, 12
	s_addc_u32 s7, s7, 0
	s_waitcnt lgkmcnt(0)
	v_mul_hi_u32 v5, s19, v8
	v_add_u32_e32 v5, v8, v5
	v_lshrrev_b32_e32 v5, s17, v5
	s_add_u32 s4, s4, 4
	v_mul_lo_u32 v9, v5, s18
	s_addc_u32 s5, s5, 0
	s_add_i32 s16, s16, -1
	v_sub_u32_e32 v9, v8, v9
	s_cmp_lg_u32 s16, 0
	v_mov_b32_e32 v8, v5
	v_mad_u64_u32 v[4:5], s[18:19], v9, s20, v[4:5]
	s_cbranch_scc1 .LBB15_30
.LBB15_31:                              ;   in Loop: Header=BB15_9 Depth=1
	s_cbranch_execnz .LBB15_34
.LBB15_32:                              ;   in Loop: Header=BB15_9 Depth=1
	v_mul_hi_u32 v4, v12, s10
	v_add_u32_e32 v4, v4, v12
	v_lshrrev_b32_e32 v5, s11, v4
	v_mul_lo_u32 v4, v5, s9
	v_sub_u32_e32 v4, v12, v4
	s_andn2_b64 vcc, exec, s[46:47]
	s_waitcnt lgkmcnt(0)
	v_mul_lo_u32 v4, v4, s48
	s_cbranch_vccnz .LBB15_34
; %bb.33:                               ;   in Loop: Header=BB15_9 Depth=1
	v_mul_hi_u32 v8, s8, v5
	v_add_u32_e32 v8, v5, v8
	v_lshrrev_b32_e32 v8, s14, v8
	v_mul_lo_u32 v8, v8, s12
	v_sub_u32_e32 v5, v5, v8
	v_mad_u64_u32 v[4:5], s[4:5], v5, s49, v[4:5]
.LBB15_34:                              ;   in Loop: Header=BB15_9 Depth=1
	v_mul_f32_e32 v5, 0.15915494, v3
	v_sin_f32_e32 v5, v5
	s_waitcnt lgkmcnt(0)
	v_mov_b32_e32 v8, s30
	v_mul_f32_e32 v5, v5, v15
	v_fma_f32 v5, s31, v5, v8
	v_bfe_u32 v8, v5, 16, 1
	v_add3_u32 v8, v5, v8, s72
	v_lshrrev_b32_e32 v8, 16, v8
	v_cmp_o_f32_e32 vcc, v5, v5
	v_cndmask_b32_e32 v5, v40, v8, vcc
	global_store_short v4, v5, s[28:29]
.LBB15_35:                              ;   in Loop: Header=BB15_9 Depth=1
	s_or_b64 exec, exec, s[2:3]
	v_mov_b32_e32 v5, s61
	v_add_co_u32_e32 v4, vcc, s33, v12
	v_addc_co_u32_e32 v5, vcc, v13, v5, vcc
	v_cmp_gt_i64_e32 vcc, s[24:25], v[4:5]
	s_and_saveexec_b64 s[2:3], vcc
	s_cbranch_execz .LBB15_51
; %bb.36:                               ;   in Loop: Header=BB15_9 Depth=1
	s_and_b64 vcc, exec, s[0:1]
	s_cbranch_vccnz .LBB15_42
; %bb.37:                               ;   in Loop: Header=BB15_9 Depth=1
	s_andn2_b64 vcc, exec, s[42:43]
	s_cbranch_vccnz .LBB15_43
; %bb.38:                               ;   in Loop: Header=BB15_9 Depth=1
	s_mov_b32 s6, 0
	s_andn2_b64 vcc, exec, s[50:51]
	v_mov_b32_e32 v8, 0
	s_cbranch_vccnz .LBB15_44
; %bb.39:                               ;   in Loop: Header=BB15_9 Depth=1
	s_mov_b32 s73, 0
	v_mov_b32_e32 v8, 0
	s_mov_b64 s[56:57], s[34:35]
	s_mov_b64 s[58:59], s[44:45]
	v_mov_b32_e32 v5, v4
.LBB15_40:                              ;   Parent Loop BB15_9 Depth=1
                                        ; =>  This Inner Loop Header: Depth=2
	s_load_dwordx8 s[16:23], s[56:57], 0x4
	s_load_dwordx4 s[4:7], s[56:57], 0x24
	s_load_dwordx4 s[36:39], s[58:59], 0x0
	s_add_u32 s56, s56, 48
	s_addc_u32 s57, s57, 0
	s_waitcnt lgkmcnt(0)
	v_mul_hi_u32 v9, s17, v5
	v_add_u32_e32 v9, v5, v9
	v_lshrrev_b32_e32 v9, s18, v9
	v_mul_lo_u32 v43, v9, s16
	v_mul_hi_u32 v44, s20, v9
	v_sub_u32_e32 v5, v5, v43
	v_add_u32_e32 v43, v9, v44
	v_lshrrev_b32_e32 v43, s21, v43
	v_mul_lo_u32 v44, v43, s19
	v_mul_hi_u32 v45, s23, v43
	v_sub_u32_e32 v9, v9, v44
	v_add_u32_e32 v44, v43, v45
	v_mul_lo_u32 v5, v5, s36
	v_mul_lo_u32 v9, v9, s37
	v_lshrrev_b32_e32 v44, s4, v44
	v_add3_u32 v8, v5, v8, v9
	v_mul_lo_u32 v5, v44, s22
	v_mul_hi_u32 v9, s6, v44
	v_sub_u32_e32 v5, v43, v5
	v_add_u32_e32 v9, v44, v9
	v_mul_lo_u32 v43, v5, s38
	v_lshrrev_b32_e32 v5, s7, v9
	s_add_i32 s73, s73, 4
	v_mul_lo_u32 v9, v5, s5
	s_add_u32 s58, s58, 16
	v_sub_u32_e32 v9, v44, v9
	s_addc_u32 s59, s59, 0
	v_mul_lo_u32 v9, v9, s39
	s_cmp_eq_u32 s67, s73
	v_add3_u32 v8, v43, v8, v9
	s_cbranch_scc0 .LBB15_40
; %bb.41:                               ;   in Loop: Header=BB15_9 Depth=1
	s_mov_b32 s6, s67
	s_andn2_b64 vcc, exec, s[54:55]
	s_cbranch_vccz .LBB15_45
	s_branch .LBB15_47
.LBB15_42:                              ;   in Loop: Header=BB15_9 Depth=1
                                        ; implicit-def: $vgpr8
	s_branch .LBB15_48
.LBB15_43:                              ;   in Loop: Header=BB15_9 Depth=1
	v_mov_b32_e32 v8, 0
	s_branch .LBB15_47
.LBB15_44:                              ;   in Loop: Header=BB15_9 Depth=1
	v_mov_b32_e32 v5, v4
	s_andn2_b64 vcc, exec, s[54:55]
	s_cbranch_vccnz .LBB15_47
.LBB15_45:                              ;   in Loop: Header=BB15_9 Depth=1
	s_lshl_b32 s4, s6, 2
	s_add_u32 s4, s44, s4
	s_addc_u32 s5, s45, 0
	s_mul_i32 s6, s6, 12
	s_add_u32 s6, s34, s6
	s_addc_u32 s7, s35, 0
	s_mov_b32 s16, s66
.LBB15_46:                              ;   Parent Loop BB15_9 Depth=1
                                        ; =>  This Inner Loop Header: Depth=2
	s_load_dwordx2 s[18:19], s[6:7], 0x4
	s_load_dword s17, s[6:7], 0xc
	s_load_dword s20, s[4:5], 0x0
	s_add_u32 s6, s6, 12
	s_addc_u32 s7, s7, 0
	s_waitcnt lgkmcnt(0)
	v_mul_hi_u32 v9, s19, v5
	v_add_u32_e32 v9, v5, v9
	v_lshrrev_b32_e32 v9, s17, v9
	s_add_u32 s4, s4, 4
	v_mul_lo_u32 v43, v9, s18
	s_addc_u32 s5, s5, 0
	s_add_i32 s16, s16, -1
	v_sub_u32_e32 v43, v5, v43
	s_cmp_lg_u32 s16, 0
	v_mov_b32_e32 v5, v9
	v_mad_u64_u32 v[8:9], s[18:19], v43, s20, v[8:9]
	s_cbranch_scc1 .LBB15_46
.LBB15_47:                              ;   in Loop: Header=BB15_9 Depth=1
	s_cbranch_execnz .LBB15_50
.LBB15_48:                              ;   in Loop: Header=BB15_9 Depth=1
	v_mul_hi_u32 v5, v4, s10
	v_add_u32_e32 v5, v5, v4
	v_lshrrev_b32_e32 v5, s11, v5
	v_mul_lo_u32 v8, v5, s9
	v_sub_u32_e32 v4, v4, v8
	s_andn2_b64 vcc, exec, s[46:47]
	s_waitcnt lgkmcnt(0)
	v_mul_lo_u32 v8, v4, s48
	s_cbranch_vccnz .LBB15_50
; %bb.49:                               ;   in Loop: Header=BB15_9 Depth=1
	v_mul_hi_u32 v4, s8, v5
	v_add_u32_e32 v4, v5, v4
	v_lshrrev_b32_e32 v4, s14, v4
	v_mul_lo_u32 v4, v4, s12
	v_sub_u32_e32 v4, v5, v4
	v_mad_u64_u32 v[8:9], s[4:5], v4, s49, v[8:9]
.LBB15_50:                              ;   in Loop: Header=BB15_9 Depth=1
	v_mul_f32_e32 v3, 0.15915494, v3
	v_cos_f32_e32 v3, v3
	s_waitcnt lgkmcnt(0)
	v_mov_b32_e32 v4, s30
	v_mul_f32_e32 v3, v3, v15
	v_fma_f32 v3, s31, v3, v4
	v_bfe_u32 v4, v3, 16, 1
	v_add3_u32 v4, v3, v4, s72
	v_lshrrev_b32_e32 v4, 16, v4
	v_cmp_o_f32_e32 vcc, v3, v3
	v_cndmask_b32_e32 v3, v40, v4, vcc
	global_store_short v8, v3, s[28:29]
.LBB15_51:                              ;   in Loop: Header=BB15_9 Depth=1
	s_or_b64 exec, exec, s[2:3]
	v_cvt_f32_u32_e32 v3, v6
	v_mov_b32_e32 v4, 0x2f800000
	v_fmac_f32_e32 v4, 0x2f800000, v3
	v_cmp_gt_f32_e32 vcc, s68, v4
	v_cndmask_b32_e32 v3, 1.0, v38, vcc
	v_mul_f32_e32 v3, v4, v3
	v_log_f32_e32 v3, v3
	v_cvt_f32_u32_e32 v4, v7
	v_cndmask_b32_e32 v5, 0, v39, vcc
	v_mul_f32_e32 v6, 0x3f317217, v3
	v_fma_f32 v7, v3, s69, -v6
	v_fmac_f32_e32 v7, 0x3377d1cf, v3
	v_add_f32_e32 v6, v6, v7
	v_cmp_lt_f32_e64 vcc, |v3|, s70
	v_cndmask_b32_e32 v3, v3, v6, vcc
	v_sub_f32_e32 v3, v3, v5
	v_mul_f32_e32 v3, -2.0, v3
	v_mul_f32_e32 v5, 0x4f800000, v3
	v_cmp_gt_f32_e32 vcc, s71, v3
	v_cndmask_b32_e32 v5, v3, v5, vcc
	v_sqrt_f32_e32 v6, v5
	v_mov_b32_e32 v3, 0x30c90fdb
	v_fmac_f32_e32 v3, 0x30c90fdb, v4
	v_add_u32_e32 v4, -1, v6
	v_fma_f32 v7, -v4, v6, v5
	v_cmp_ge_f32_e64 s[2:3], 0, v7
	v_add_u32_e32 v7, 1, v6
	v_cndmask_b32_e64 v4, v6, v4, s[2:3]
	v_fma_f32 v6, -v7, v6, v5
	v_cmp_lt_f32_e64 s[2:3], 0, v6
	v_cndmask_b32_e64 v4, v4, v7, s[2:3]
	v_mul_f32_e32 v6, 0x37800000, v4
	v_cndmask_b32_e32 v4, v4, v6, vcc
	v_cmp_class_f32_e32 vcc, v5, v37
	v_cndmask_b32_e32 v8, v4, v5, vcc
	v_mov_b32_e32 v5, s15
	v_add_co_u32_e32 v4, vcc, s13, v12
	v_addc_co_u32_e32 v5, vcc, v13, v5, vcc
	v_cmp_gt_i64_e32 vcc, s[24:25], v[4:5]
	s_and_saveexec_b64 s[2:3], vcc
	s_cbranch_execz .LBB15_67
; %bb.52:                               ;   in Loop: Header=BB15_9 Depth=1
	s_and_b64 vcc, exec, s[0:1]
	s_cbranch_vccnz .LBB15_58
; %bb.53:                               ;   in Loop: Header=BB15_9 Depth=1
	s_andn2_b64 vcc, exec, s[42:43]
	s_cbranch_vccnz .LBB15_59
; %bb.54:                               ;   in Loop: Header=BB15_9 Depth=1
	s_mov_b32 s6, 0
	s_andn2_b64 vcc, exec, s[50:51]
	v_mov_b32_e32 v6, 0
	s_cbranch_vccnz .LBB15_60
; %bb.55:                               ;   in Loop: Header=BB15_9 Depth=1
	s_mov_b32 s73, 0
	v_mov_b32_e32 v6, 0
	s_mov_b64 s[56:57], s[34:35]
	s_mov_b64 s[58:59], s[44:45]
	v_mov_b32_e32 v5, v4
.LBB15_56:                              ;   Parent Loop BB15_9 Depth=1
                                        ; =>  This Inner Loop Header: Depth=2
	s_load_dwordx8 s[16:23], s[56:57], 0x4
	s_load_dwordx4 s[4:7], s[56:57], 0x24
	s_load_dwordx4 s[36:39], s[58:59], 0x0
	s_add_u32 s56, s56, 48
	s_addc_u32 s57, s57, 0
	s_waitcnt lgkmcnt(0)
	v_mul_hi_u32 v7, s17, v5
	v_add_u32_e32 v7, v5, v7
	v_lshrrev_b32_e32 v7, s18, v7
	v_mul_lo_u32 v9, v7, s16
	v_mul_hi_u32 v15, s20, v7
	v_sub_u32_e32 v5, v5, v9
	v_add_u32_e32 v9, v7, v15
	v_lshrrev_b32_e32 v9, s21, v9
	v_mul_lo_u32 v15, v9, s19
	v_mul_hi_u32 v43, s23, v9
	v_sub_u32_e32 v7, v7, v15
	v_add_u32_e32 v15, v9, v43
	v_mul_lo_u32 v5, v5, s36
	v_mul_lo_u32 v7, v7, s37
	v_lshrrev_b32_e32 v15, s4, v15
	v_add3_u32 v6, v5, v6, v7
	v_mul_lo_u32 v5, v15, s22
	v_mul_hi_u32 v7, s6, v15
	v_sub_u32_e32 v5, v9, v5
	v_add_u32_e32 v7, v15, v7
	v_mul_lo_u32 v9, v5, s38
	v_lshrrev_b32_e32 v5, s7, v7
	s_add_i32 s73, s73, 4
	v_mul_lo_u32 v7, v5, s5
	s_add_u32 s58, s58, 16
	v_sub_u32_e32 v7, v15, v7
	s_addc_u32 s59, s59, 0
	v_mul_lo_u32 v7, v7, s39
	s_cmp_eq_u32 s67, s73
	v_add3_u32 v6, v9, v6, v7
	s_cbranch_scc0 .LBB15_56
; %bb.57:                               ;   in Loop: Header=BB15_9 Depth=1
	s_mov_b32 s6, s67
	s_andn2_b64 vcc, exec, s[54:55]
	s_cbranch_vccz .LBB15_61
	s_branch .LBB15_63
.LBB15_58:                              ;   in Loop: Header=BB15_9 Depth=1
                                        ; implicit-def: $vgpr6
	s_branch .LBB15_64
.LBB15_59:                              ;   in Loop: Header=BB15_9 Depth=1
	v_mov_b32_e32 v6, 0
	s_branch .LBB15_63
.LBB15_60:                              ;   in Loop: Header=BB15_9 Depth=1
	v_mov_b32_e32 v5, v4
	s_andn2_b64 vcc, exec, s[54:55]
	s_cbranch_vccnz .LBB15_63
.LBB15_61:                              ;   in Loop: Header=BB15_9 Depth=1
	s_lshl_b32 s4, s6, 2
	s_add_u32 s4, s44, s4
	s_addc_u32 s5, s45, 0
	s_mul_i32 s6, s6, 12
	s_add_u32 s6, s34, s6
	s_addc_u32 s7, s35, 0
	s_mov_b32 s16, s66
.LBB15_62:                              ;   Parent Loop BB15_9 Depth=1
                                        ; =>  This Inner Loop Header: Depth=2
	s_load_dwordx2 s[18:19], s[6:7], 0x4
	s_load_dword s17, s[6:7], 0xc
	s_load_dword s20, s[4:5], 0x0
	s_add_u32 s6, s6, 12
	s_addc_u32 s7, s7, 0
	s_waitcnt lgkmcnt(0)
	v_mul_hi_u32 v7, s19, v5
	v_add_u32_e32 v7, v5, v7
	v_lshrrev_b32_e32 v7, s17, v7
	s_add_u32 s4, s4, 4
	v_mul_lo_u32 v9, v7, s18
	s_addc_u32 s5, s5, 0
	s_add_i32 s16, s16, -1
	v_sub_u32_e32 v9, v5, v9
	s_cmp_lg_u32 s16, 0
	v_mov_b32_e32 v5, v7
	v_mad_u64_u32 v[6:7], s[18:19], v9, s20, v[6:7]
	s_cbranch_scc1 .LBB15_62
.LBB15_63:                              ;   in Loop: Header=BB15_9 Depth=1
	s_cbranch_execnz .LBB15_66
.LBB15_64:                              ;   in Loop: Header=BB15_9 Depth=1
	v_mul_hi_u32 v5, v4, s10
	v_add_u32_e32 v5, v5, v4
	v_lshrrev_b32_e32 v5, s11, v5
	v_mul_lo_u32 v6, v5, s9
	v_sub_u32_e32 v4, v4, v6
	s_andn2_b64 vcc, exec, s[46:47]
	s_waitcnt lgkmcnt(0)
	v_mul_lo_u32 v6, v4, s48
	s_cbranch_vccnz .LBB15_66
; %bb.65:                               ;   in Loop: Header=BB15_9 Depth=1
	v_mul_hi_u32 v4, s8, v5
	v_add_u32_e32 v4, v5, v4
	v_lshrrev_b32_e32 v4, s14, v4
	v_mul_lo_u32 v4, v4, s12
	v_sub_u32_e32 v4, v5, v4
	v_mad_u64_u32 v[6:7], s[4:5], v4, s49, v[6:7]
.LBB15_66:                              ;   in Loop: Header=BB15_9 Depth=1
	v_mul_f32_e32 v4, 0.15915494, v3
	v_sin_f32_e32 v4, v4
	s_waitcnt lgkmcnt(0)
	v_mov_b32_e32 v5, s30
	v_mul_f32_e32 v4, v4, v8
	v_fma_f32 v4, s31, v4, v5
	v_bfe_u32 v5, v4, 16, 1
	v_add3_u32 v5, v4, v5, s72
	v_lshrrev_b32_e32 v5, 16, v5
	v_cmp_o_f32_e32 vcc, v4, v4
	v_cndmask_b32_e32 v4, v40, v5, vcc
	global_store_short v6, v4, s[28:29]
.LBB15_67:                              ;   in Loop: Header=BB15_9 Depth=1
	s_or_b64 exec, exec, s[2:3]
	v_mov_b32_e32 v5, s65
	v_add_co_u32_e32 v4, vcc, s64, v12
	v_addc_co_u32_e32 v5, vcc, v13, v5, vcc
	v_cmp_gt_i64_e32 vcc, s[24:25], v[4:5]
	s_and_saveexec_b64 s[36:37], vcc
	s_cbranch_execz .LBB15_8
; %bb.68:                               ;   in Loop: Header=BB15_9 Depth=1
	s_and_b64 vcc, exec, s[0:1]
	s_cbranch_vccnz .LBB15_74
; %bb.69:                               ;   in Loop: Header=BB15_9 Depth=1
	s_andn2_b64 vcc, exec, s[42:43]
	s_cbranch_vccnz .LBB15_75
; %bb.70:                               ;   in Loop: Header=BB15_9 Depth=1
	s_mov_b32 s2, 0
	s_andn2_b64 vcc, exec, s[50:51]
	v_mov_b32_e32 v6, 0
	s_cbranch_vccnz .LBB15_76
; %bb.71:                               ;   in Loop: Header=BB15_9 Depth=1
	s_mov_b32 s58, 0
	v_mov_b32_e32 v6, 0
	s_mov_b64 s[38:39], s[34:35]
	s_mov_b64 s[56:57], s[44:45]
	v_mov_b32_e32 v5, v4
.LBB15_72:                              ;   Parent Loop BB15_9 Depth=1
                                        ; =>  This Inner Loop Header: Depth=2
	s_load_dwordx8 s[0:7], s[38:39], 0x4
	s_load_dwordx4 s[16:19], s[38:39], 0x24
	s_load_dwordx4 s[20:23], s[56:57], 0x0
	s_add_u32 s38, s38, 48
	s_addc_u32 s39, s39, 0
	s_waitcnt lgkmcnt(0)
	v_mul_hi_u32 v7, s1, v5
	v_add_u32_e32 v7, v5, v7
	v_lshrrev_b32_e32 v7, s2, v7
	v_mul_lo_u32 v9, v7, s0
	v_mul_hi_u32 v15, s4, v7
	v_sub_u32_e32 v5, v5, v9
	v_add_u32_e32 v9, v7, v15
	v_lshrrev_b32_e32 v9, s5, v9
	v_mul_lo_u32 v15, v9, s3
	v_mul_hi_u32 v43, s7, v9
	v_sub_u32_e32 v7, v7, v15
	v_add_u32_e32 v15, v9, v43
	v_mul_lo_u32 v5, v5, s20
	v_mul_lo_u32 v7, v7, s21
	v_lshrrev_b32_e32 v15, s16, v15
	v_add3_u32 v6, v5, v6, v7
	v_mul_lo_u32 v5, v15, s6
	v_mul_hi_u32 v7, s18, v15
	v_sub_u32_e32 v5, v9, v5
	v_add_u32_e32 v7, v15, v7
	v_mul_lo_u32 v9, v5, s22
	v_lshrrev_b32_e32 v5, s19, v7
	s_add_i32 s58, s58, 4
	v_mul_lo_u32 v7, v5, s17
	s_add_u32 s56, s56, 16
	v_sub_u32_e32 v7, v15, v7
	s_addc_u32 s57, s57, 0
	v_mul_lo_u32 v7, v7, s23
	s_cmp_eq_u32 s67, s58
	v_add3_u32 v6, v9, v6, v7
	s_cbranch_scc0 .LBB15_72
; %bb.73:                               ;   in Loop: Header=BB15_9 Depth=1
	s_mov_b32 s2, s67
	s_andn2_b64 vcc, exec, s[54:55]
	s_cbranch_vccz .LBB15_77
	s_branch .LBB15_79
.LBB15_74:                              ;   in Loop: Header=BB15_9 Depth=1
                                        ; implicit-def: $vgpr6
	s_branch .LBB15_80
.LBB15_75:                              ;   in Loop: Header=BB15_9 Depth=1
	v_mov_b32_e32 v6, 0
	s_branch .LBB15_79
.LBB15_76:                              ;   in Loop: Header=BB15_9 Depth=1
	v_mov_b32_e32 v5, v4
	s_andn2_b64 vcc, exec, s[54:55]
	s_cbranch_vccnz .LBB15_79
.LBB15_77:                              ;   in Loop: Header=BB15_9 Depth=1
	s_lshl_b32 s0, s2, 2
	s_add_u32 s0, s44, s0
	s_addc_u32 s1, s45, 0
	s_mul_i32 s2, s2, 12
	s_add_u32 s2, s34, s2
	s_addc_u32 s3, s35, 0
	s_mov_b32 s4, s66
.LBB15_78:                              ;   Parent Loop BB15_9 Depth=1
                                        ; =>  This Inner Loop Header: Depth=2
	s_load_dwordx2 s[6:7], s[2:3], 0x4
	s_load_dword s5, s[2:3], 0xc
	s_load_dword s16, s[0:1], 0x0
	s_add_u32 s2, s2, 12
	s_addc_u32 s3, s3, 0
	s_waitcnt lgkmcnt(0)
	v_mul_hi_u32 v7, s7, v5
	v_add_u32_e32 v7, v5, v7
	v_lshrrev_b32_e32 v7, s5, v7
	s_add_u32 s0, s0, 4
	v_mul_lo_u32 v9, v7, s6
	s_addc_u32 s1, s1, 0
	s_add_i32 s4, s4, -1
	v_sub_u32_e32 v9, v5, v9
	s_cmp_lg_u32 s4, 0
	v_mov_b32_e32 v5, v7
	v_mad_u64_u32 v[6:7], s[6:7], v9, s16, v[6:7]
	s_cbranch_scc1 .LBB15_78
.LBB15_79:                              ;   in Loop: Header=BB15_9 Depth=1
	s_cbranch_execnz .LBB15_7
.LBB15_80:                              ;   in Loop: Header=BB15_9 Depth=1
	v_mul_hi_u32 v5, v4, s10
	v_add_u32_e32 v5, v5, v4
	v_lshrrev_b32_e32 v5, s11, v5
	v_mul_lo_u32 v6, v5, s9
	v_sub_u32_e32 v4, v4, v6
	s_andn2_b64 vcc, exec, s[46:47]
	s_waitcnt lgkmcnt(0)
	v_mul_lo_u32 v6, v4, s48
	s_cbranch_vccnz .LBB15_7
; %bb.81:                               ;   in Loop: Header=BB15_9 Depth=1
	v_mul_hi_u32 v4, s8, v5
	v_add_u32_e32 v4, v5, v4
	v_lshrrev_b32_e32 v4, s14, v4
	v_mul_lo_u32 v4, v4, s12
	v_sub_u32_e32 v4, v5, v4
	v_mad_u64_u32 v[6:7], s[0:1], v4, s49, v[6:7]
	s_branch .LBB15_7
.LBB15_82:
	s_endpgm
.LBB15_83:
                                        ; implicit-def: $sgpr2_sgpr3
	s_andn2_b64 vcc, exec, s[0:1]
	s_cbranch_vccz .LBB15_4
	s_branch .LBB15_5
	.section	.rodata,"a",@progbits
	.p2align	6, 0x0
	.amdhsa_kernel _ZN2at6native12_GLOBAL__N_143distribution_elementwise_grid_stride_kernelIfLi4EZNS0_9templates4cuda20normal_and_transformIN3c108BFloat16EfPNS_17CUDAGeneratorImplEZZZNS4_13normal_kernelIS9_EEvRKNS_10TensorBaseEddT_ENKUlvE_clEvENKUlvE2_clEvEUlfE_EEvRNS_18TensorIteratorBaseET1_T2_EUlP25hiprandStatePhilox4_32_10E0_ZNS1_27distribution_nullary_kernelIS7_f15HIP_vector_typeIfLj4EES9_SO_SH_EEvSJ_SL_RKT3_T4_EUlifE0_EEvlNS_15PhiloxCudaStateESK_SL_
		.amdhsa_group_segment_fixed_size 0
		.amdhsa_private_segment_fixed_size 0
		.amdhsa_kernarg_size 584
		.amdhsa_user_sgpr_count 6
		.amdhsa_user_sgpr_private_segment_buffer 1
		.amdhsa_user_sgpr_dispatch_ptr 0
		.amdhsa_user_sgpr_queue_ptr 0
		.amdhsa_user_sgpr_kernarg_segment_ptr 1
		.amdhsa_user_sgpr_dispatch_id 0
		.amdhsa_user_sgpr_flat_scratch_init 0
		.amdhsa_user_sgpr_kernarg_preload_length 0
		.amdhsa_user_sgpr_kernarg_preload_offset 0
		.amdhsa_user_sgpr_private_segment_size 0
		.amdhsa_uses_dynamic_stack 0
		.amdhsa_system_sgpr_private_segment_wavefront_offset 0
		.amdhsa_system_sgpr_workgroup_id_x 1
		.amdhsa_system_sgpr_workgroup_id_y 0
		.amdhsa_system_sgpr_workgroup_id_z 0
		.amdhsa_system_sgpr_workgroup_info 0
		.amdhsa_system_vgpr_workitem_id 0
		.amdhsa_next_free_vgpr 46
		.amdhsa_next_free_sgpr 74
		.amdhsa_accum_offset 48
		.amdhsa_reserve_vcc 1
		.amdhsa_reserve_flat_scratch 0
		.amdhsa_float_round_mode_32 0
		.amdhsa_float_round_mode_16_64 0
		.amdhsa_float_denorm_mode_32 3
		.amdhsa_float_denorm_mode_16_64 3
		.amdhsa_dx10_clamp 1
		.amdhsa_ieee_mode 1
		.amdhsa_fp16_overflow 0
		.amdhsa_tg_split 0
		.amdhsa_exception_fp_ieee_invalid_op 0
		.amdhsa_exception_fp_denorm_src 0
		.amdhsa_exception_fp_ieee_div_zero 0
		.amdhsa_exception_fp_ieee_overflow 0
		.amdhsa_exception_fp_ieee_underflow 0
		.amdhsa_exception_fp_ieee_inexact 0
		.amdhsa_exception_int_div_zero 0
	.end_amdhsa_kernel
	.section	.text._ZN2at6native12_GLOBAL__N_143distribution_elementwise_grid_stride_kernelIfLi4EZNS0_9templates4cuda20normal_and_transformIN3c108BFloat16EfPNS_17CUDAGeneratorImplEZZZNS4_13normal_kernelIS9_EEvRKNS_10TensorBaseEddT_ENKUlvE_clEvENKUlvE2_clEvEUlfE_EEvRNS_18TensorIteratorBaseET1_T2_EUlP25hiprandStatePhilox4_32_10E0_ZNS1_27distribution_nullary_kernelIS7_f15HIP_vector_typeIfLj4EES9_SO_SH_EEvSJ_SL_RKT3_T4_EUlifE0_EEvlNS_15PhiloxCudaStateESK_SL_,"axG",@progbits,_ZN2at6native12_GLOBAL__N_143distribution_elementwise_grid_stride_kernelIfLi4EZNS0_9templates4cuda20normal_and_transformIN3c108BFloat16EfPNS_17CUDAGeneratorImplEZZZNS4_13normal_kernelIS9_EEvRKNS_10TensorBaseEddT_ENKUlvE_clEvENKUlvE2_clEvEUlfE_EEvRNS_18TensorIteratorBaseET1_T2_EUlP25hiprandStatePhilox4_32_10E0_ZNS1_27distribution_nullary_kernelIS7_f15HIP_vector_typeIfLj4EES9_SO_SH_EEvSJ_SL_RKT3_T4_EUlifE0_EEvlNS_15PhiloxCudaStateESK_SL_,comdat
.Lfunc_end15:
	.size	_ZN2at6native12_GLOBAL__N_143distribution_elementwise_grid_stride_kernelIfLi4EZNS0_9templates4cuda20normal_and_transformIN3c108BFloat16EfPNS_17CUDAGeneratorImplEZZZNS4_13normal_kernelIS9_EEvRKNS_10TensorBaseEddT_ENKUlvE_clEvENKUlvE2_clEvEUlfE_EEvRNS_18TensorIteratorBaseET1_T2_EUlP25hiprandStatePhilox4_32_10E0_ZNS1_27distribution_nullary_kernelIS7_f15HIP_vector_typeIfLj4EES9_SO_SH_EEvSJ_SL_RKT3_T4_EUlifE0_EEvlNS_15PhiloxCudaStateESK_SL_, .Lfunc_end15-_ZN2at6native12_GLOBAL__N_143distribution_elementwise_grid_stride_kernelIfLi4EZNS0_9templates4cuda20normal_and_transformIN3c108BFloat16EfPNS_17CUDAGeneratorImplEZZZNS4_13normal_kernelIS9_EEvRKNS_10TensorBaseEddT_ENKUlvE_clEvENKUlvE2_clEvEUlfE_EEvRNS_18TensorIteratorBaseET1_T2_EUlP25hiprandStatePhilox4_32_10E0_ZNS1_27distribution_nullary_kernelIS7_f15HIP_vector_typeIfLj4EES9_SO_SH_EEvSJ_SL_RKT3_T4_EUlifE0_EEvlNS_15PhiloxCudaStateESK_SL_
                                        ; -- End function
	.section	.AMDGPU.csdata,"",@progbits
; Kernel info:
; codeLenInByte = 5016
; NumSgprs: 78
; NumVgprs: 46
; NumAgprs: 0
; TotalNumVgprs: 46
; ScratchSize: 0
; MemoryBound: 0
; FloatMode: 240
; IeeeMode: 1
; LDSByteSize: 0 bytes/workgroup (compile time only)
; SGPRBlocks: 9
; VGPRBlocks: 5
; NumSGPRsForWavesPerEU: 78
; NumVGPRsForWavesPerEU: 46
; AccumOffset: 48
; Occupancy: 8
; WaveLimiterHint : 1
; COMPUTE_PGM_RSRC2:SCRATCH_EN: 0
; COMPUTE_PGM_RSRC2:USER_SGPR: 6
; COMPUTE_PGM_RSRC2:TRAP_HANDLER: 0
; COMPUTE_PGM_RSRC2:TGID_X_EN: 1
; COMPUTE_PGM_RSRC2:TGID_Y_EN: 0
; COMPUTE_PGM_RSRC2:TGID_Z_EN: 0
; COMPUTE_PGM_RSRC2:TIDIG_COMP_CNT: 0
; COMPUTE_PGM_RSRC3_GFX90A:ACCUM_OFFSET: 11
; COMPUTE_PGM_RSRC3_GFX90A:TG_SPLIT: 0
	.text
	.p2alignl 6, 3212836864
	.fill 256, 4, 3212836864
	.type	__hip_cuid_3358469557a9f720,@object ; @__hip_cuid_3358469557a9f720
	.section	.bss,"aw",@nobits
	.globl	__hip_cuid_3358469557a9f720
__hip_cuid_3358469557a9f720:
	.byte	0                               ; 0x0
	.size	__hip_cuid_3358469557a9f720, 1

	.ident	"AMD clang version 19.0.0git (https://github.com/RadeonOpenCompute/llvm-project roc-6.4.0 25133 c7fe45cf4b819c5991fe208aaa96edf142730f1d)"
	.section	".note.GNU-stack","",@progbits
	.addrsig
	.addrsig_sym __hip_cuid_3358469557a9f720
	.amdgpu_metadata
---
amdhsa.kernels:
  - .agpr_count:     0
    .args:
      - .offset:         0
        .size:           8
        .value_kind:     by_value
      - .offset:         8
        .size:           32
        .value_kind:     by_value
      - .offset:         40
        .size:           1
        .value_kind:     by_value
      - .offset:         48
        .size:           32
        .value_kind:     by_value
      - .offset:         80
        .size:           4
        .value_kind:     hidden_block_count_x
      - .offset:         84
        .size:           4
        .value_kind:     hidden_block_count_y
      - .offset:         88
        .size:           4
        .value_kind:     hidden_block_count_z
      - .offset:         92
        .size:           2
        .value_kind:     hidden_group_size_x
      - .offset:         94
        .size:           2
        .value_kind:     hidden_group_size_y
      - .offset:         96
        .size:           2
        .value_kind:     hidden_group_size_z
      - .offset:         98
        .size:           2
        .value_kind:     hidden_remainder_x
      - .offset:         100
        .size:           2
        .value_kind:     hidden_remainder_y
      - .offset:         102
        .size:           2
        .value_kind:     hidden_remainder_z
      - .offset:         120
        .size:           8
        .value_kind:     hidden_global_offset_x
      - .offset:         128
        .size:           8
        .value_kind:     hidden_global_offset_y
      - .offset:         136
        .size:           8
        .value_kind:     hidden_global_offset_z
      - .offset:         144
        .size:           2
        .value_kind:     hidden_grid_dims
    .group_segment_fixed_size: 0
    .kernarg_segment_align: 8
    .kernarg_segment_size: 336
    .language:       OpenCL C
    .language_version:
      - 2
      - 0
    .max_flat_workgroup_size: 256
    .name:           _ZN2at6native12_GLOBAL__N_143distribution_elementwise_grid_stride_kernelIdLi2EZNS0_9templates4cuda20normal_and_transformIddPNS_17CUDAGeneratorImplEZZZNS4_13normal_kernelIS7_EEvRKNS_10TensorBaseEddT_ENKUlvE_clEvENKUlvE_clEvEUldE_EEvRNS_18TensorIteratorBaseET1_T2_EUlP25hiprandStatePhilox4_32_10E_ZNS1_27distribution_nullary_kernelIdd15HIP_vector_typeIdLj2EES7_SM_SF_EEvSH_SJ_RKT3_T4_EUlidE_EEvlNS_15PhiloxCudaStateESI_SJ_
    .private_segment_fixed_size: 0
    .sgpr_count:     48
    .sgpr_spill_count: 0
    .symbol:         _ZN2at6native12_GLOBAL__N_143distribution_elementwise_grid_stride_kernelIdLi2EZNS0_9templates4cuda20normal_and_transformIddPNS_17CUDAGeneratorImplEZZZNS4_13normal_kernelIS7_EEvRKNS_10TensorBaseEddT_ENKUlvE_clEvENKUlvE_clEvEUldE_EEvRNS_18TensorIteratorBaseET1_T2_EUlP25hiprandStatePhilox4_32_10E_ZNS1_27distribution_nullary_kernelIdd15HIP_vector_typeIdLj2EES7_SM_SF_EEvSH_SJ_RKT3_T4_EUlidE_EEvlNS_15PhiloxCudaStateESI_SJ_.kd
    .uniform_work_group_size: 1
    .uses_dynamic_stack: false
    .vgpr_count:     96
    .vgpr_spill_count: 0
    .wavefront_size: 64
  - .agpr_count:     0
    .args:
      - .offset:         0
        .size:           8
        .value_kind:     by_value
      - .offset:         8
        .size:           32
        .value_kind:     by_value
      - .offset:         40
        .size:           1
        .value_kind:     by_value
      - .offset:         48
        .size:           288
        .value_kind:     by_value
      - .offset:         336
        .size:           4
        .value_kind:     hidden_block_count_x
      - .offset:         340
        .size:           4
        .value_kind:     hidden_block_count_y
      - .offset:         344
        .size:           4
        .value_kind:     hidden_block_count_z
      - .offset:         348
        .size:           2
        .value_kind:     hidden_group_size_x
      - .offset:         350
        .size:           2
        .value_kind:     hidden_group_size_y
      - .offset:         352
        .size:           2
        .value_kind:     hidden_group_size_z
      - .offset:         354
        .size:           2
        .value_kind:     hidden_remainder_x
      - .offset:         356
        .size:           2
        .value_kind:     hidden_remainder_y
      - .offset:         358
        .size:           2
        .value_kind:     hidden_remainder_z
      - .offset:         376
        .size:           8
        .value_kind:     hidden_global_offset_x
      - .offset:         384
        .size:           8
        .value_kind:     hidden_global_offset_y
      - .offset:         392
        .size:           8
        .value_kind:     hidden_global_offset_z
      - .offset:         400
        .size:           2
        .value_kind:     hidden_grid_dims
    .group_segment_fixed_size: 0
    .kernarg_segment_align: 8
    .kernarg_segment_size: 592
    .language:       OpenCL C
    .language_version:
      - 2
      - 0
    .max_flat_workgroup_size: 256
    .name:           _ZN2at6native12_GLOBAL__N_143distribution_elementwise_grid_stride_kernelIdLi2EZNS0_9templates4cuda20normal_and_transformIddPNS_17CUDAGeneratorImplEZZZNS4_13normal_kernelIS7_EEvRKNS_10TensorBaseEddT_ENKUlvE_clEvENKUlvE_clEvEUldE_EEvRNS_18TensorIteratorBaseET1_T2_EUlP25hiprandStatePhilox4_32_10E_ZNS1_27distribution_nullary_kernelIdd15HIP_vector_typeIdLj2EES7_SM_SF_EEvSH_SJ_RKT3_T4_EUlidE0_EEvlNS_15PhiloxCudaStateESI_SJ_
    .private_segment_fixed_size: 0
    .sgpr_count:     93
    .sgpr_spill_count: 0
    .symbol:         _ZN2at6native12_GLOBAL__N_143distribution_elementwise_grid_stride_kernelIdLi2EZNS0_9templates4cuda20normal_and_transformIddPNS_17CUDAGeneratorImplEZZZNS4_13normal_kernelIS7_EEvRKNS_10TensorBaseEddT_ENKUlvE_clEvENKUlvE_clEvEUldE_EEvRNS_18TensorIteratorBaseET1_T2_EUlP25hiprandStatePhilox4_32_10E_ZNS1_27distribution_nullary_kernelIdd15HIP_vector_typeIdLj2EES7_SM_SF_EEvSH_SJ_RKT3_T4_EUlidE0_EEvlNS_15PhiloxCudaStateESI_SJ_.kd
    .uniform_work_group_size: 1
    .uses_dynamic_stack: false
    .vgpr_count:     94
    .vgpr_spill_count: 0
    .wavefront_size: 64
  - .agpr_count:     0
    .args:
      - .offset:         0
        .size:           8
        .value_kind:     by_value
      - .offset:         8
        .size:           32
        .value_kind:     by_value
      - .offset:         40
        .size:           1
        .value_kind:     by_value
      - .offset:         48
        .size:           32
        .value_kind:     by_value
      - .offset:         80
        .size:           4
        .value_kind:     hidden_block_count_x
      - .offset:         84
        .size:           4
        .value_kind:     hidden_block_count_y
      - .offset:         88
        .size:           4
        .value_kind:     hidden_block_count_z
      - .offset:         92
        .size:           2
        .value_kind:     hidden_group_size_x
      - .offset:         94
        .size:           2
        .value_kind:     hidden_group_size_y
      - .offset:         96
        .size:           2
        .value_kind:     hidden_group_size_z
      - .offset:         98
        .size:           2
        .value_kind:     hidden_remainder_x
      - .offset:         100
        .size:           2
        .value_kind:     hidden_remainder_y
      - .offset:         102
        .size:           2
        .value_kind:     hidden_remainder_z
      - .offset:         120
        .size:           8
        .value_kind:     hidden_global_offset_x
      - .offset:         128
        .size:           8
        .value_kind:     hidden_global_offset_y
      - .offset:         136
        .size:           8
        .value_kind:     hidden_global_offset_z
      - .offset:         144
        .size:           2
        .value_kind:     hidden_grid_dims
    .group_segment_fixed_size: 0
    .kernarg_segment_align: 8
    .kernarg_segment_size: 336
    .language:       OpenCL C
    .language_version:
      - 2
      - 0
    .max_flat_workgroup_size: 256
    .name:           _ZN2at6native12_GLOBAL__N_143distribution_elementwise_grid_stride_kernelIdLi2EZNS0_9templates4cuda20normal_and_transformIddPNS_17CUDAGeneratorImplEZZZNS4_13normal_kernelIS7_EEvRKNS_10TensorBaseEddT_ENKUlvE_clEvENKUlvE_clEvEUldE_EEvRNS_18TensorIteratorBaseET1_T2_EUlP25hiprandStatePhilox4_32_10E0_ZNS1_27distribution_nullary_kernelIdd15HIP_vector_typeIfLj4EES7_SM_SF_EEvSH_SJ_RKT3_T4_EUlidE_EEvlNS_15PhiloxCudaStateESI_SJ_
    .private_segment_fixed_size: 0
    .sgpr_count:     31
    .sgpr_spill_count: 0
    .symbol:         _ZN2at6native12_GLOBAL__N_143distribution_elementwise_grid_stride_kernelIdLi2EZNS0_9templates4cuda20normal_and_transformIddPNS_17CUDAGeneratorImplEZZZNS4_13normal_kernelIS7_EEvRKNS_10TensorBaseEddT_ENKUlvE_clEvENKUlvE_clEvEUldE_EEvRNS_18TensorIteratorBaseET1_T2_EUlP25hiprandStatePhilox4_32_10E0_ZNS1_27distribution_nullary_kernelIdd15HIP_vector_typeIfLj4EES7_SM_SF_EEvSH_SJ_RKT3_T4_EUlidE_EEvlNS_15PhiloxCudaStateESI_SJ_.kd
    .uniform_work_group_size: 1
    .uses_dynamic_stack: false
    .vgpr_count:     46
    .vgpr_spill_count: 0
    .wavefront_size: 64
  - .agpr_count:     0
    .args:
      - .offset:         0
        .size:           8
        .value_kind:     by_value
      - .offset:         8
        .size:           32
        .value_kind:     by_value
      - .offset:         40
        .size:           1
        .value_kind:     by_value
      - .offset:         48
        .size:           288
        .value_kind:     by_value
      - .offset:         336
        .size:           4
        .value_kind:     hidden_block_count_x
      - .offset:         340
        .size:           4
        .value_kind:     hidden_block_count_y
      - .offset:         344
        .size:           4
        .value_kind:     hidden_block_count_z
      - .offset:         348
        .size:           2
        .value_kind:     hidden_group_size_x
      - .offset:         350
        .size:           2
        .value_kind:     hidden_group_size_y
      - .offset:         352
        .size:           2
        .value_kind:     hidden_group_size_z
      - .offset:         354
        .size:           2
        .value_kind:     hidden_remainder_x
      - .offset:         356
        .size:           2
        .value_kind:     hidden_remainder_y
      - .offset:         358
        .size:           2
        .value_kind:     hidden_remainder_z
      - .offset:         376
        .size:           8
        .value_kind:     hidden_global_offset_x
      - .offset:         384
        .size:           8
        .value_kind:     hidden_global_offset_y
      - .offset:         392
        .size:           8
        .value_kind:     hidden_global_offset_z
      - .offset:         400
        .size:           2
        .value_kind:     hidden_grid_dims
    .group_segment_fixed_size: 0
    .kernarg_segment_align: 8
    .kernarg_segment_size: 592
    .language:       OpenCL C
    .language_version:
      - 2
      - 0
    .max_flat_workgroup_size: 256
    .name:           _ZN2at6native12_GLOBAL__N_143distribution_elementwise_grid_stride_kernelIdLi2EZNS0_9templates4cuda20normal_and_transformIddPNS_17CUDAGeneratorImplEZZZNS4_13normal_kernelIS7_EEvRKNS_10TensorBaseEddT_ENKUlvE_clEvENKUlvE_clEvEUldE_EEvRNS_18TensorIteratorBaseET1_T2_EUlP25hiprandStatePhilox4_32_10E0_ZNS1_27distribution_nullary_kernelIdd15HIP_vector_typeIfLj4EES7_SM_SF_EEvSH_SJ_RKT3_T4_EUlidE0_EEvlNS_15PhiloxCudaStateESI_SJ_
    .private_segment_fixed_size: 0
    .sgpr_count:     75
    .sgpr_spill_count: 0
    .symbol:         _ZN2at6native12_GLOBAL__N_143distribution_elementwise_grid_stride_kernelIdLi2EZNS0_9templates4cuda20normal_and_transformIddPNS_17CUDAGeneratorImplEZZZNS4_13normal_kernelIS7_EEvRKNS_10TensorBaseEddT_ENKUlvE_clEvENKUlvE_clEvEUldE_EEvRNS_18TensorIteratorBaseET1_T2_EUlP25hiprandStatePhilox4_32_10E0_ZNS1_27distribution_nullary_kernelIdd15HIP_vector_typeIfLj4EES7_SM_SF_EEvSH_SJ_RKT3_T4_EUlidE0_EEvlNS_15PhiloxCudaStateESI_SJ_.kd
    .uniform_work_group_size: 1
    .uses_dynamic_stack: false
    .vgpr_count:     43
    .vgpr_spill_count: 0
    .wavefront_size: 64
  - .agpr_count:     0
    .args:
      - .offset:         0
        .size:           8
        .value_kind:     by_value
      - .offset:         8
        .size:           32
        .value_kind:     by_value
      - .offset:         40
        .size:           1
        .value_kind:     by_value
      - .offset:         48
        .size:           24
        .value_kind:     by_value
      - .offset:         72
        .size:           4
        .value_kind:     hidden_block_count_x
      - .offset:         76
        .size:           4
        .value_kind:     hidden_block_count_y
      - .offset:         80
        .size:           4
        .value_kind:     hidden_block_count_z
      - .offset:         84
        .size:           2
        .value_kind:     hidden_group_size_x
      - .offset:         86
        .size:           2
        .value_kind:     hidden_group_size_y
      - .offset:         88
        .size:           2
        .value_kind:     hidden_group_size_z
      - .offset:         90
        .size:           2
        .value_kind:     hidden_remainder_x
      - .offset:         92
        .size:           2
        .value_kind:     hidden_remainder_y
      - .offset:         94
        .size:           2
        .value_kind:     hidden_remainder_z
      - .offset:         112
        .size:           8
        .value_kind:     hidden_global_offset_x
      - .offset:         120
        .size:           8
        .value_kind:     hidden_global_offset_y
      - .offset:         128
        .size:           8
        .value_kind:     hidden_global_offset_z
      - .offset:         136
        .size:           2
        .value_kind:     hidden_grid_dims
    .group_segment_fixed_size: 0
    .kernarg_segment_align: 8
    .kernarg_segment_size: 328
    .language:       OpenCL C
    .language_version:
      - 2
      - 0
    .max_flat_workgroup_size: 256
    .name:           _ZN2at6native12_GLOBAL__N_143distribution_elementwise_grid_stride_kernelIfLi4EZNS0_9templates4cuda20normal_and_transformIffPNS_17CUDAGeneratorImplEZZZNS4_13normal_kernelIS7_EEvRKNS_10TensorBaseEddT_ENKUlvE_clEvENKUlvE0_clEvEUlfE_EEvRNS_18TensorIteratorBaseET1_T2_EUlP25hiprandStatePhilox4_32_10E_ZNS1_27distribution_nullary_kernelIff15HIP_vector_typeIdLj2EES7_SM_SF_EEvSH_SJ_RKT3_T4_EUlifE_EEvlNS_15PhiloxCudaStateESI_SJ_
    .private_segment_fixed_size: 0
    .sgpr_count:     46
    .sgpr_spill_count: 0
    .symbol:         _ZN2at6native12_GLOBAL__N_143distribution_elementwise_grid_stride_kernelIfLi4EZNS0_9templates4cuda20normal_and_transformIffPNS_17CUDAGeneratorImplEZZZNS4_13normal_kernelIS7_EEvRKNS_10TensorBaseEddT_ENKUlvE_clEvENKUlvE0_clEvEUlfE_EEvRNS_18TensorIteratorBaseET1_T2_EUlP25hiprandStatePhilox4_32_10E_ZNS1_27distribution_nullary_kernelIff15HIP_vector_typeIdLj2EES7_SM_SF_EEvSH_SJ_RKT3_T4_EUlifE_EEvlNS_15PhiloxCudaStateESI_SJ_.kd
    .uniform_work_group_size: 1
    .uses_dynamic_stack: false
    .vgpr_count:     96
    .vgpr_spill_count: 0
    .wavefront_size: 64
  - .agpr_count:     0
    .args:
      - .offset:         0
        .size:           8
        .value_kind:     by_value
      - .offset:         8
        .size:           32
        .value_kind:     by_value
      - .offset:         40
        .size:           1
        .value_kind:     by_value
      - .offset:         48
        .size:           280
        .value_kind:     by_value
      - .offset:         328
        .size:           4
        .value_kind:     hidden_block_count_x
      - .offset:         332
        .size:           4
        .value_kind:     hidden_block_count_y
      - .offset:         336
        .size:           4
        .value_kind:     hidden_block_count_z
      - .offset:         340
        .size:           2
        .value_kind:     hidden_group_size_x
      - .offset:         342
        .size:           2
        .value_kind:     hidden_group_size_y
      - .offset:         344
        .size:           2
        .value_kind:     hidden_group_size_z
      - .offset:         346
        .size:           2
        .value_kind:     hidden_remainder_x
      - .offset:         348
        .size:           2
        .value_kind:     hidden_remainder_y
      - .offset:         350
        .size:           2
        .value_kind:     hidden_remainder_z
      - .offset:         368
        .size:           8
        .value_kind:     hidden_global_offset_x
      - .offset:         376
        .size:           8
        .value_kind:     hidden_global_offset_y
      - .offset:         384
        .size:           8
        .value_kind:     hidden_global_offset_z
      - .offset:         392
        .size:           2
        .value_kind:     hidden_grid_dims
    .group_segment_fixed_size: 0
    .kernarg_segment_align: 8
    .kernarg_segment_size: 584
    .language:       OpenCL C
    .language_version:
      - 2
      - 0
    .max_flat_workgroup_size: 256
    .name:           _ZN2at6native12_GLOBAL__N_143distribution_elementwise_grid_stride_kernelIfLi4EZNS0_9templates4cuda20normal_and_transformIffPNS_17CUDAGeneratorImplEZZZNS4_13normal_kernelIS7_EEvRKNS_10TensorBaseEddT_ENKUlvE_clEvENKUlvE0_clEvEUlfE_EEvRNS_18TensorIteratorBaseET1_T2_EUlP25hiprandStatePhilox4_32_10E_ZNS1_27distribution_nullary_kernelIff15HIP_vector_typeIdLj2EES7_SM_SF_EEvSH_SJ_RKT3_T4_EUlifE0_EEvlNS_15PhiloxCudaStateESI_SJ_
    .private_segment_fixed_size: 0
    .sgpr_count:     91
    .sgpr_spill_count: 0
    .symbol:         _ZN2at6native12_GLOBAL__N_143distribution_elementwise_grid_stride_kernelIfLi4EZNS0_9templates4cuda20normal_and_transformIffPNS_17CUDAGeneratorImplEZZZNS4_13normal_kernelIS7_EEvRKNS_10TensorBaseEddT_ENKUlvE_clEvENKUlvE0_clEvEUlfE_EEvRNS_18TensorIteratorBaseET1_T2_EUlP25hiprandStatePhilox4_32_10E_ZNS1_27distribution_nullary_kernelIff15HIP_vector_typeIdLj2EES7_SM_SF_EEvSH_SJ_RKT3_T4_EUlifE0_EEvlNS_15PhiloxCudaStateESI_SJ_.kd
    .uniform_work_group_size: 1
    .uses_dynamic_stack: false
    .vgpr_count:     94
    .vgpr_spill_count: 0
    .wavefront_size: 64
  - .agpr_count:     0
    .args:
      - .offset:         0
        .size:           8
        .value_kind:     by_value
      - .offset:         8
        .size:           32
        .value_kind:     by_value
      - .offset:         40
        .size:           1
        .value_kind:     by_value
      - .offset:         48
        .size:           24
        .value_kind:     by_value
      - .offset:         72
        .size:           4
        .value_kind:     hidden_block_count_x
      - .offset:         76
        .size:           4
        .value_kind:     hidden_block_count_y
      - .offset:         80
        .size:           4
        .value_kind:     hidden_block_count_z
      - .offset:         84
        .size:           2
        .value_kind:     hidden_group_size_x
      - .offset:         86
        .size:           2
        .value_kind:     hidden_group_size_y
      - .offset:         88
        .size:           2
        .value_kind:     hidden_group_size_z
      - .offset:         90
        .size:           2
        .value_kind:     hidden_remainder_x
      - .offset:         92
        .size:           2
        .value_kind:     hidden_remainder_y
      - .offset:         94
        .size:           2
        .value_kind:     hidden_remainder_z
      - .offset:         112
        .size:           8
        .value_kind:     hidden_global_offset_x
      - .offset:         120
        .size:           8
        .value_kind:     hidden_global_offset_y
      - .offset:         128
        .size:           8
        .value_kind:     hidden_global_offset_z
      - .offset:         136
        .size:           2
        .value_kind:     hidden_grid_dims
    .group_segment_fixed_size: 0
    .kernarg_segment_align: 8
    .kernarg_segment_size: 328
    .language:       OpenCL C
    .language_version:
      - 2
      - 0
    .max_flat_workgroup_size: 256
    .name:           _ZN2at6native12_GLOBAL__N_143distribution_elementwise_grid_stride_kernelIfLi4EZNS0_9templates4cuda20normal_and_transformIffPNS_17CUDAGeneratorImplEZZZNS4_13normal_kernelIS7_EEvRKNS_10TensorBaseEddT_ENKUlvE_clEvENKUlvE0_clEvEUlfE_EEvRNS_18TensorIteratorBaseET1_T2_EUlP25hiprandStatePhilox4_32_10E0_ZNS1_27distribution_nullary_kernelIff15HIP_vector_typeIfLj4EES7_SM_SF_EEvSH_SJ_RKT3_T4_EUlifE_EEvlNS_15PhiloxCudaStateESI_SJ_
    .private_segment_fixed_size: 0
    .sgpr_count:     33
    .sgpr_spill_count: 0
    .symbol:         _ZN2at6native12_GLOBAL__N_143distribution_elementwise_grid_stride_kernelIfLi4EZNS0_9templates4cuda20normal_and_transformIffPNS_17CUDAGeneratorImplEZZZNS4_13normal_kernelIS7_EEvRKNS_10TensorBaseEddT_ENKUlvE_clEvENKUlvE0_clEvEUlfE_EEvRNS_18TensorIteratorBaseET1_T2_EUlP25hiprandStatePhilox4_32_10E0_ZNS1_27distribution_nullary_kernelIff15HIP_vector_typeIfLj4EES7_SM_SF_EEvSH_SJ_RKT3_T4_EUlifE_EEvlNS_15PhiloxCudaStateESI_SJ_.kd
    .uniform_work_group_size: 1
    .uses_dynamic_stack: false
    .vgpr_count:     50
    .vgpr_spill_count: 0
    .wavefront_size: 64
  - .agpr_count:     0
    .args:
      - .offset:         0
        .size:           8
        .value_kind:     by_value
      - .offset:         8
        .size:           32
        .value_kind:     by_value
      - .offset:         40
        .size:           1
        .value_kind:     by_value
      - .offset:         48
        .size:           280
        .value_kind:     by_value
      - .offset:         328
        .size:           4
        .value_kind:     hidden_block_count_x
      - .offset:         332
        .size:           4
        .value_kind:     hidden_block_count_y
      - .offset:         336
        .size:           4
        .value_kind:     hidden_block_count_z
      - .offset:         340
        .size:           2
        .value_kind:     hidden_group_size_x
      - .offset:         342
        .size:           2
        .value_kind:     hidden_group_size_y
      - .offset:         344
        .size:           2
        .value_kind:     hidden_group_size_z
      - .offset:         346
        .size:           2
        .value_kind:     hidden_remainder_x
      - .offset:         348
        .size:           2
        .value_kind:     hidden_remainder_y
      - .offset:         350
        .size:           2
        .value_kind:     hidden_remainder_z
      - .offset:         368
        .size:           8
        .value_kind:     hidden_global_offset_x
      - .offset:         376
        .size:           8
        .value_kind:     hidden_global_offset_y
      - .offset:         384
        .size:           8
        .value_kind:     hidden_global_offset_z
      - .offset:         392
        .size:           2
        .value_kind:     hidden_grid_dims
    .group_segment_fixed_size: 0
    .kernarg_segment_align: 8
    .kernarg_segment_size: 584
    .language:       OpenCL C
    .language_version:
      - 2
      - 0
    .max_flat_workgroup_size: 256
    .name:           _ZN2at6native12_GLOBAL__N_143distribution_elementwise_grid_stride_kernelIfLi4EZNS0_9templates4cuda20normal_and_transformIffPNS_17CUDAGeneratorImplEZZZNS4_13normal_kernelIS7_EEvRKNS_10TensorBaseEddT_ENKUlvE_clEvENKUlvE0_clEvEUlfE_EEvRNS_18TensorIteratorBaseET1_T2_EUlP25hiprandStatePhilox4_32_10E0_ZNS1_27distribution_nullary_kernelIff15HIP_vector_typeIfLj4EES7_SM_SF_EEvSH_SJ_RKT3_T4_EUlifE0_EEvlNS_15PhiloxCudaStateESI_SJ_
    .private_segment_fixed_size: 0
    .sgpr_count:     77
    .sgpr_spill_count: 0
    .symbol:         _ZN2at6native12_GLOBAL__N_143distribution_elementwise_grid_stride_kernelIfLi4EZNS0_9templates4cuda20normal_and_transformIffPNS_17CUDAGeneratorImplEZZZNS4_13normal_kernelIS7_EEvRKNS_10TensorBaseEddT_ENKUlvE_clEvENKUlvE0_clEvEUlfE_EEvRNS_18TensorIteratorBaseET1_T2_EUlP25hiprandStatePhilox4_32_10E0_ZNS1_27distribution_nullary_kernelIff15HIP_vector_typeIfLj4EES7_SM_SF_EEvSH_SJ_RKT3_T4_EUlifE0_EEvlNS_15PhiloxCudaStateESI_SJ_.kd
    .uniform_work_group_size: 1
    .uses_dynamic_stack: false
    .vgpr_count:     45
    .vgpr_spill_count: 0
    .wavefront_size: 64
  - .agpr_count:     0
    .args:
      - .offset:         0
        .size:           8
        .value_kind:     by_value
      - .offset:         8
        .size:           32
        .value_kind:     by_value
      - .offset:         40
        .size:           1
        .value_kind:     by_value
      - .offset:         48
        .size:           24
        .value_kind:     by_value
      - .offset:         72
        .size:           4
        .value_kind:     hidden_block_count_x
      - .offset:         76
        .size:           4
        .value_kind:     hidden_block_count_y
      - .offset:         80
        .size:           4
        .value_kind:     hidden_block_count_z
      - .offset:         84
        .size:           2
        .value_kind:     hidden_group_size_x
      - .offset:         86
        .size:           2
        .value_kind:     hidden_group_size_y
      - .offset:         88
        .size:           2
        .value_kind:     hidden_group_size_z
      - .offset:         90
        .size:           2
        .value_kind:     hidden_remainder_x
      - .offset:         92
        .size:           2
        .value_kind:     hidden_remainder_y
      - .offset:         94
        .size:           2
        .value_kind:     hidden_remainder_z
      - .offset:         112
        .size:           8
        .value_kind:     hidden_global_offset_x
      - .offset:         120
        .size:           8
        .value_kind:     hidden_global_offset_y
      - .offset:         128
        .size:           8
        .value_kind:     hidden_global_offset_z
      - .offset:         136
        .size:           2
        .value_kind:     hidden_grid_dims
    .group_segment_fixed_size: 0
    .kernarg_segment_align: 8
    .kernarg_segment_size: 328
    .language:       OpenCL C
    .language_version:
      - 2
      - 0
    .max_flat_workgroup_size: 256
    .name:           _ZN2at6native12_GLOBAL__N_143distribution_elementwise_grid_stride_kernelIfLi4EZNS0_9templates4cuda20normal_and_transformIN3c104HalfEfPNS_17CUDAGeneratorImplEZZZNS4_13normal_kernelIS9_EEvRKNS_10TensorBaseEddT_ENKUlvE_clEvENKUlvE1_clEvEUlfE_EEvRNS_18TensorIteratorBaseET1_T2_EUlP25hiprandStatePhilox4_32_10E_ZNS1_27distribution_nullary_kernelIS7_f15HIP_vector_typeIdLj2EES9_SO_SH_EEvSJ_SL_RKT3_T4_EUlifE_EEvlNS_15PhiloxCudaStateESK_SL_
    .private_segment_fixed_size: 0
    .sgpr_count:     46
    .sgpr_spill_count: 0
    .symbol:         _ZN2at6native12_GLOBAL__N_143distribution_elementwise_grid_stride_kernelIfLi4EZNS0_9templates4cuda20normal_and_transformIN3c104HalfEfPNS_17CUDAGeneratorImplEZZZNS4_13normal_kernelIS9_EEvRKNS_10TensorBaseEddT_ENKUlvE_clEvENKUlvE1_clEvEUlfE_EEvRNS_18TensorIteratorBaseET1_T2_EUlP25hiprandStatePhilox4_32_10E_ZNS1_27distribution_nullary_kernelIS7_f15HIP_vector_typeIdLj2EES9_SO_SH_EEvSJ_SL_RKT3_T4_EUlifE_EEvlNS_15PhiloxCudaStateESK_SL_.kd
    .uniform_work_group_size: 1
    .uses_dynamic_stack: false
    .vgpr_count:     96
    .vgpr_spill_count: 0
    .wavefront_size: 64
  - .agpr_count:     0
    .args:
      - .offset:         0
        .size:           8
        .value_kind:     by_value
      - .offset:         8
        .size:           32
        .value_kind:     by_value
      - .offset:         40
        .size:           1
        .value_kind:     by_value
      - .offset:         48
        .size:           280
        .value_kind:     by_value
      - .offset:         328
        .size:           4
        .value_kind:     hidden_block_count_x
      - .offset:         332
        .size:           4
        .value_kind:     hidden_block_count_y
      - .offset:         336
        .size:           4
        .value_kind:     hidden_block_count_z
      - .offset:         340
        .size:           2
        .value_kind:     hidden_group_size_x
      - .offset:         342
        .size:           2
        .value_kind:     hidden_group_size_y
      - .offset:         344
        .size:           2
        .value_kind:     hidden_group_size_z
      - .offset:         346
        .size:           2
        .value_kind:     hidden_remainder_x
      - .offset:         348
        .size:           2
        .value_kind:     hidden_remainder_y
      - .offset:         350
        .size:           2
        .value_kind:     hidden_remainder_z
      - .offset:         368
        .size:           8
        .value_kind:     hidden_global_offset_x
      - .offset:         376
        .size:           8
        .value_kind:     hidden_global_offset_y
      - .offset:         384
        .size:           8
        .value_kind:     hidden_global_offset_z
      - .offset:         392
        .size:           2
        .value_kind:     hidden_grid_dims
    .group_segment_fixed_size: 0
    .kernarg_segment_align: 8
    .kernarg_segment_size: 584
    .language:       OpenCL C
    .language_version:
      - 2
      - 0
    .max_flat_workgroup_size: 256
    .name:           _ZN2at6native12_GLOBAL__N_143distribution_elementwise_grid_stride_kernelIfLi4EZNS0_9templates4cuda20normal_and_transformIN3c104HalfEfPNS_17CUDAGeneratorImplEZZZNS4_13normal_kernelIS9_EEvRKNS_10TensorBaseEddT_ENKUlvE_clEvENKUlvE1_clEvEUlfE_EEvRNS_18TensorIteratorBaseET1_T2_EUlP25hiprandStatePhilox4_32_10E_ZNS1_27distribution_nullary_kernelIS7_f15HIP_vector_typeIdLj2EES9_SO_SH_EEvSJ_SL_RKT3_T4_EUlifE0_EEvlNS_15PhiloxCudaStateESK_SL_
    .private_segment_fixed_size: 0
    .sgpr_count:     91
    .sgpr_spill_count: 0
    .symbol:         _ZN2at6native12_GLOBAL__N_143distribution_elementwise_grid_stride_kernelIfLi4EZNS0_9templates4cuda20normal_and_transformIN3c104HalfEfPNS_17CUDAGeneratorImplEZZZNS4_13normal_kernelIS9_EEvRKNS_10TensorBaseEddT_ENKUlvE_clEvENKUlvE1_clEvEUlfE_EEvRNS_18TensorIteratorBaseET1_T2_EUlP25hiprandStatePhilox4_32_10E_ZNS1_27distribution_nullary_kernelIS7_f15HIP_vector_typeIdLj2EES9_SO_SH_EEvSJ_SL_RKT3_T4_EUlifE0_EEvlNS_15PhiloxCudaStateESK_SL_.kd
    .uniform_work_group_size: 1
    .uses_dynamic_stack: false
    .vgpr_count:     94
    .vgpr_spill_count: 0
    .wavefront_size: 64
  - .agpr_count:     0
    .args:
      - .offset:         0
        .size:           8
        .value_kind:     by_value
      - .offset:         8
        .size:           32
        .value_kind:     by_value
      - .offset:         40
        .size:           1
        .value_kind:     by_value
      - .offset:         48
        .size:           24
        .value_kind:     by_value
      - .offset:         72
        .size:           4
        .value_kind:     hidden_block_count_x
      - .offset:         76
        .size:           4
        .value_kind:     hidden_block_count_y
      - .offset:         80
        .size:           4
        .value_kind:     hidden_block_count_z
      - .offset:         84
        .size:           2
        .value_kind:     hidden_group_size_x
      - .offset:         86
        .size:           2
        .value_kind:     hidden_group_size_y
      - .offset:         88
        .size:           2
        .value_kind:     hidden_group_size_z
      - .offset:         90
        .size:           2
        .value_kind:     hidden_remainder_x
      - .offset:         92
        .size:           2
        .value_kind:     hidden_remainder_y
      - .offset:         94
        .size:           2
        .value_kind:     hidden_remainder_z
      - .offset:         112
        .size:           8
        .value_kind:     hidden_global_offset_x
      - .offset:         120
        .size:           8
        .value_kind:     hidden_global_offset_y
      - .offset:         128
        .size:           8
        .value_kind:     hidden_global_offset_z
      - .offset:         136
        .size:           2
        .value_kind:     hidden_grid_dims
    .group_segment_fixed_size: 0
    .kernarg_segment_align: 8
    .kernarg_segment_size: 328
    .language:       OpenCL C
    .language_version:
      - 2
      - 0
    .max_flat_workgroup_size: 256
    .name:           _ZN2at6native12_GLOBAL__N_143distribution_elementwise_grid_stride_kernelIfLi4EZNS0_9templates4cuda20normal_and_transformIN3c104HalfEfPNS_17CUDAGeneratorImplEZZZNS4_13normal_kernelIS9_EEvRKNS_10TensorBaseEddT_ENKUlvE_clEvENKUlvE1_clEvEUlfE_EEvRNS_18TensorIteratorBaseET1_T2_EUlP25hiprandStatePhilox4_32_10E0_ZNS1_27distribution_nullary_kernelIS7_f15HIP_vector_typeIfLj4EES9_SO_SH_EEvSJ_SL_RKT3_T4_EUlifE_EEvlNS_15PhiloxCudaStateESK_SL_
    .private_segment_fixed_size: 0
    .sgpr_count:     33
    .sgpr_spill_count: 0
    .symbol:         _ZN2at6native12_GLOBAL__N_143distribution_elementwise_grid_stride_kernelIfLi4EZNS0_9templates4cuda20normal_and_transformIN3c104HalfEfPNS_17CUDAGeneratorImplEZZZNS4_13normal_kernelIS9_EEvRKNS_10TensorBaseEddT_ENKUlvE_clEvENKUlvE1_clEvEUlfE_EEvRNS_18TensorIteratorBaseET1_T2_EUlP25hiprandStatePhilox4_32_10E0_ZNS1_27distribution_nullary_kernelIS7_f15HIP_vector_typeIfLj4EES9_SO_SH_EEvSJ_SL_RKT3_T4_EUlifE_EEvlNS_15PhiloxCudaStateESK_SL_.kd
    .uniform_work_group_size: 1
    .uses_dynamic_stack: false
    .vgpr_count:     50
    .vgpr_spill_count: 0
    .wavefront_size: 64
  - .agpr_count:     0
    .args:
      - .offset:         0
        .size:           8
        .value_kind:     by_value
      - .offset:         8
        .size:           32
        .value_kind:     by_value
      - .offset:         40
        .size:           1
        .value_kind:     by_value
      - .offset:         48
        .size:           280
        .value_kind:     by_value
      - .offset:         328
        .size:           4
        .value_kind:     hidden_block_count_x
      - .offset:         332
        .size:           4
        .value_kind:     hidden_block_count_y
      - .offset:         336
        .size:           4
        .value_kind:     hidden_block_count_z
      - .offset:         340
        .size:           2
        .value_kind:     hidden_group_size_x
      - .offset:         342
        .size:           2
        .value_kind:     hidden_group_size_y
      - .offset:         344
        .size:           2
        .value_kind:     hidden_group_size_z
      - .offset:         346
        .size:           2
        .value_kind:     hidden_remainder_x
      - .offset:         348
        .size:           2
        .value_kind:     hidden_remainder_y
      - .offset:         350
        .size:           2
        .value_kind:     hidden_remainder_z
      - .offset:         368
        .size:           8
        .value_kind:     hidden_global_offset_x
      - .offset:         376
        .size:           8
        .value_kind:     hidden_global_offset_y
      - .offset:         384
        .size:           8
        .value_kind:     hidden_global_offset_z
      - .offset:         392
        .size:           2
        .value_kind:     hidden_grid_dims
    .group_segment_fixed_size: 0
    .kernarg_segment_align: 8
    .kernarg_segment_size: 584
    .language:       OpenCL C
    .language_version:
      - 2
      - 0
    .max_flat_workgroup_size: 256
    .name:           _ZN2at6native12_GLOBAL__N_143distribution_elementwise_grid_stride_kernelIfLi4EZNS0_9templates4cuda20normal_and_transformIN3c104HalfEfPNS_17CUDAGeneratorImplEZZZNS4_13normal_kernelIS9_EEvRKNS_10TensorBaseEddT_ENKUlvE_clEvENKUlvE1_clEvEUlfE_EEvRNS_18TensorIteratorBaseET1_T2_EUlP25hiprandStatePhilox4_32_10E0_ZNS1_27distribution_nullary_kernelIS7_f15HIP_vector_typeIfLj4EES9_SO_SH_EEvSJ_SL_RKT3_T4_EUlifE0_EEvlNS_15PhiloxCudaStateESK_SL_
    .private_segment_fixed_size: 0
    .sgpr_count:     77
    .sgpr_spill_count: 0
    .symbol:         _ZN2at6native12_GLOBAL__N_143distribution_elementwise_grid_stride_kernelIfLi4EZNS0_9templates4cuda20normal_and_transformIN3c104HalfEfPNS_17CUDAGeneratorImplEZZZNS4_13normal_kernelIS9_EEvRKNS_10TensorBaseEddT_ENKUlvE_clEvENKUlvE1_clEvEUlfE_EEvRNS_18TensorIteratorBaseET1_T2_EUlP25hiprandStatePhilox4_32_10E0_ZNS1_27distribution_nullary_kernelIS7_f15HIP_vector_typeIfLj4EES9_SO_SH_EEvSJ_SL_RKT3_T4_EUlifE0_EEvlNS_15PhiloxCudaStateESK_SL_.kd
    .uniform_work_group_size: 1
    .uses_dynamic_stack: false
    .vgpr_count:     45
    .vgpr_spill_count: 0
    .wavefront_size: 64
  - .agpr_count:     0
    .args:
      - .offset:         0
        .size:           8
        .value_kind:     by_value
      - .offset:         8
        .size:           32
        .value_kind:     by_value
      - .offset:         40
        .size:           1
        .value_kind:     by_value
      - .offset:         48
        .size:           24
        .value_kind:     by_value
      - .offset:         72
        .size:           4
        .value_kind:     hidden_block_count_x
      - .offset:         76
        .size:           4
        .value_kind:     hidden_block_count_y
      - .offset:         80
        .size:           4
        .value_kind:     hidden_block_count_z
      - .offset:         84
        .size:           2
        .value_kind:     hidden_group_size_x
      - .offset:         86
        .size:           2
        .value_kind:     hidden_group_size_y
      - .offset:         88
        .size:           2
        .value_kind:     hidden_group_size_z
      - .offset:         90
        .size:           2
        .value_kind:     hidden_remainder_x
      - .offset:         92
        .size:           2
        .value_kind:     hidden_remainder_y
      - .offset:         94
        .size:           2
        .value_kind:     hidden_remainder_z
      - .offset:         112
        .size:           8
        .value_kind:     hidden_global_offset_x
      - .offset:         120
        .size:           8
        .value_kind:     hidden_global_offset_y
      - .offset:         128
        .size:           8
        .value_kind:     hidden_global_offset_z
      - .offset:         136
        .size:           2
        .value_kind:     hidden_grid_dims
    .group_segment_fixed_size: 0
    .kernarg_segment_align: 8
    .kernarg_segment_size: 328
    .language:       OpenCL C
    .language_version:
      - 2
      - 0
    .max_flat_workgroup_size: 256
    .name:           _ZN2at6native12_GLOBAL__N_143distribution_elementwise_grid_stride_kernelIfLi4EZNS0_9templates4cuda20normal_and_transformIN3c108BFloat16EfPNS_17CUDAGeneratorImplEZZZNS4_13normal_kernelIS9_EEvRKNS_10TensorBaseEddT_ENKUlvE_clEvENKUlvE2_clEvEUlfE_EEvRNS_18TensorIteratorBaseET1_T2_EUlP25hiprandStatePhilox4_32_10E_ZNS1_27distribution_nullary_kernelIS7_f15HIP_vector_typeIdLj2EES9_SO_SH_EEvSJ_SL_RKT3_T4_EUlifE_EEvlNS_15PhiloxCudaStateESK_SL_
    .private_segment_fixed_size: 0
    .sgpr_count:     47
    .sgpr_spill_count: 0
    .symbol:         _ZN2at6native12_GLOBAL__N_143distribution_elementwise_grid_stride_kernelIfLi4EZNS0_9templates4cuda20normal_and_transformIN3c108BFloat16EfPNS_17CUDAGeneratorImplEZZZNS4_13normal_kernelIS9_EEvRKNS_10TensorBaseEddT_ENKUlvE_clEvENKUlvE2_clEvEUlfE_EEvRNS_18TensorIteratorBaseET1_T2_EUlP25hiprandStatePhilox4_32_10E_ZNS1_27distribution_nullary_kernelIS7_f15HIP_vector_typeIdLj2EES9_SO_SH_EEvSJ_SL_RKT3_T4_EUlifE_EEvlNS_15PhiloxCudaStateESK_SL_.kd
    .uniform_work_group_size: 1
    .uses_dynamic_stack: false
    .vgpr_count:     94
    .vgpr_spill_count: 0
    .wavefront_size: 64
  - .agpr_count:     0
    .args:
      - .offset:         0
        .size:           8
        .value_kind:     by_value
      - .offset:         8
        .size:           32
        .value_kind:     by_value
      - .offset:         40
        .size:           1
        .value_kind:     by_value
      - .offset:         48
        .size:           280
        .value_kind:     by_value
      - .offset:         328
        .size:           4
        .value_kind:     hidden_block_count_x
      - .offset:         332
        .size:           4
        .value_kind:     hidden_block_count_y
      - .offset:         336
        .size:           4
        .value_kind:     hidden_block_count_z
      - .offset:         340
        .size:           2
        .value_kind:     hidden_group_size_x
      - .offset:         342
        .size:           2
        .value_kind:     hidden_group_size_y
      - .offset:         344
        .size:           2
        .value_kind:     hidden_group_size_z
      - .offset:         346
        .size:           2
        .value_kind:     hidden_remainder_x
      - .offset:         348
        .size:           2
        .value_kind:     hidden_remainder_y
      - .offset:         350
        .size:           2
        .value_kind:     hidden_remainder_z
      - .offset:         368
        .size:           8
        .value_kind:     hidden_global_offset_x
      - .offset:         376
        .size:           8
        .value_kind:     hidden_global_offset_y
      - .offset:         384
        .size:           8
        .value_kind:     hidden_global_offset_z
      - .offset:         392
        .size:           2
        .value_kind:     hidden_grid_dims
    .group_segment_fixed_size: 0
    .kernarg_segment_align: 8
    .kernarg_segment_size: 584
    .language:       OpenCL C
    .language_version:
      - 2
      - 0
    .max_flat_workgroup_size: 256
    .name:           _ZN2at6native12_GLOBAL__N_143distribution_elementwise_grid_stride_kernelIfLi4EZNS0_9templates4cuda20normal_and_transformIN3c108BFloat16EfPNS_17CUDAGeneratorImplEZZZNS4_13normal_kernelIS9_EEvRKNS_10TensorBaseEddT_ENKUlvE_clEvENKUlvE2_clEvEUlfE_EEvRNS_18TensorIteratorBaseET1_T2_EUlP25hiprandStatePhilox4_32_10E_ZNS1_27distribution_nullary_kernelIS7_f15HIP_vector_typeIdLj2EES9_SO_SH_EEvSJ_SL_RKT3_T4_EUlifE0_EEvlNS_15PhiloxCudaStateESK_SL_
    .private_segment_fixed_size: 0
    .sgpr_count:     92
    .sgpr_spill_count: 0
    .symbol:         _ZN2at6native12_GLOBAL__N_143distribution_elementwise_grid_stride_kernelIfLi4EZNS0_9templates4cuda20normal_and_transformIN3c108BFloat16EfPNS_17CUDAGeneratorImplEZZZNS4_13normal_kernelIS9_EEvRKNS_10TensorBaseEddT_ENKUlvE_clEvENKUlvE2_clEvEUlfE_EEvRNS_18TensorIteratorBaseET1_T2_EUlP25hiprandStatePhilox4_32_10E_ZNS1_27distribution_nullary_kernelIS7_f15HIP_vector_typeIdLj2EES9_SO_SH_EEvSJ_SL_RKT3_T4_EUlifE0_EEvlNS_15PhiloxCudaStateESK_SL_.kd
    .uniform_work_group_size: 1
    .uses_dynamic_stack: false
    .vgpr_count:     96
    .vgpr_spill_count: 0
    .wavefront_size: 64
  - .agpr_count:     0
    .args:
      - .offset:         0
        .size:           8
        .value_kind:     by_value
      - .offset:         8
        .size:           32
        .value_kind:     by_value
      - .offset:         40
        .size:           1
        .value_kind:     by_value
      - .offset:         48
        .size:           24
        .value_kind:     by_value
      - .offset:         72
        .size:           4
        .value_kind:     hidden_block_count_x
      - .offset:         76
        .size:           4
        .value_kind:     hidden_block_count_y
      - .offset:         80
        .size:           4
        .value_kind:     hidden_block_count_z
      - .offset:         84
        .size:           2
        .value_kind:     hidden_group_size_x
      - .offset:         86
        .size:           2
        .value_kind:     hidden_group_size_y
      - .offset:         88
        .size:           2
        .value_kind:     hidden_group_size_z
      - .offset:         90
        .size:           2
        .value_kind:     hidden_remainder_x
      - .offset:         92
        .size:           2
        .value_kind:     hidden_remainder_y
      - .offset:         94
        .size:           2
        .value_kind:     hidden_remainder_z
      - .offset:         112
        .size:           8
        .value_kind:     hidden_global_offset_x
      - .offset:         120
        .size:           8
        .value_kind:     hidden_global_offset_y
      - .offset:         128
        .size:           8
        .value_kind:     hidden_global_offset_z
      - .offset:         136
        .size:           2
        .value_kind:     hidden_grid_dims
    .group_segment_fixed_size: 0
    .kernarg_segment_align: 8
    .kernarg_segment_size: 328
    .language:       OpenCL C
    .language_version:
      - 2
      - 0
    .max_flat_workgroup_size: 256
    .name:           _ZN2at6native12_GLOBAL__N_143distribution_elementwise_grid_stride_kernelIfLi4EZNS0_9templates4cuda20normal_and_transformIN3c108BFloat16EfPNS_17CUDAGeneratorImplEZZZNS4_13normal_kernelIS9_EEvRKNS_10TensorBaseEddT_ENKUlvE_clEvENKUlvE2_clEvEUlfE_EEvRNS_18TensorIteratorBaseET1_T2_EUlP25hiprandStatePhilox4_32_10E0_ZNS1_27distribution_nullary_kernelIS7_f15HIP_vector_typeIfLj4EES9_SO_SH_EEvSJ_SL_RKT3_T4_EUlifE_EEvlNS_15PhiloxCudaStateESK_SL_
    .private_segment_fixed_size: 0
    .sgpr_count:     34
    .sgpr_spill_count: 0
    .symbol:         _ZN2at6native12_GLOBAL__N_143distribution_elementwise_grid_stride_kernelIfLi4EZNS0_9templates4cuda20normal_and_transformIN3c108BFloat16EfPNS_17CUDAGeneratorImplEZZZNS4_13normal_kernelIS9_EEvRKNS_10TensorBaseEddT_ENKUlvE_clEvENKUlvE2_clEvEUlfE_EEvRNS_18TensorIteratorBaseET1_T2_EUlP25hiprandStatePhilox4_32_10E0_ZNS1_27distribution_nullary_kernelIS7_f15HIP_vector_typeIfLj4EES9_SO_SH_EEvSJ_SL_RKT3_T4_EUlifE_EEvlNS_15PhiloxCudaStateESK_SL_.kd
    .uniform_work_group_size: 1
    .uses_dynamic_stack: false
    .vgpr_count:     52
    .vgpr_spill_count: 0
    .wavefront_size: 64
  - .agpr_count:     0
    .args:
      - .offset:         0
        .size:           8
        .value_kind:     by_value
      - .offset:         8
        .size:           32
        .value_kind:     by_value
      - .offset:         40
        .size:           1
        .value_kind:     by_value
      - .offset:         48
        .size:           280
        .value_kind:     by_value
      - .offset:         328
        .size:           4
        .value_kind:     hidden_block_count_x
      - .offset:         332
        .size:           4
        .value_kind:     hidden_block_count_y
      - .offset:         336
        .size:           4
        .value_kind:     hidden_block_count_z
      - .offset:         340
        .size:           2
        .value_kind:     hidden_group_size_x
      - .offset:         342
        .size:           2
        .value_kind:     hidden_group_size_y
      - .offset:         344
        .size:           2
        .value_kind:     hidden_group_size_z
      - .offset:         346
        .size:           2
        .value_kind:     hidden_remainder_x
      - .offset:         348
        .size:           2
        .value_kind:     hidden_remainder_y
      - .offset:         350
        .size:           2
        .value_kind:     hidden_remainder_z
      - .offset:         368
        .size:           8
        .value_kind:     hidden_global_offset_x
      - .offset:         376
        .size:           8
        .value_kind:     hidden_global_offset_y
      - .offset:         384
        .size:           8
        .value_kind:     hidden_global_offset_z
      - .offset:         392
        .size:           2
        .value_kind:     hidden_grid_dims
    .group_segment_fixed_size: 0
    .kernarg_segment_align: 8
    .kernarg_segment_size: 584
    .language:       OpenCL C
    .language_version:
      - 2
      - 0
    .max_flat_workgroup_size: 256
    .name:           _ZN2at6native12_GLOBAL__N_143distribution_elementwise_grid_stride_kernelIfLi4EZNS0_9templates4cuda20normal_and_transformIN3c108BFloat16EfPNS_17CUDAGeneratorImplEZZZNS4_13normal_kernelIS9_EEvRKNS_10TensorBaseEddT_ENKUlvE_clEvENKUlvE2_clEvEUlfE_EEvRNS_18TensorIteratorBaseET1_T2_EUlP25hiprandStatePhilox4_32_10E0_ZNS1_27distribution_nullary_kernelIS7_f15HIP_vector_typeIfLj4EES9_SO_SH_EEvSJ_SL_RKT3_T4_EUlifE0_EEvlNS_15PhiloxCudaStateESK_SL_
    .private_segment_fixed_size: 0
    .sgpr_count:     78
    .sgpr_spill_count: 0
    .symbol:         _ZN2at6native12_GLOBAL__N_143distribution_elementwise_grid_stride_kernelIfLi4EZNS0_9templates4cuda20normal_and_transformIN3c108BFloat16EfPNS_17CUDAGeneratorImplEZZZNS4_13normal_kernelIS9_EEvRKNS_10TensorBaseEddT_ENKUlvE_clEvENKUlvE2_clEvEUlfE_EEvRNS_18TensorIteratorBaseET1_T2_EUlP25hiprandStatePhilox4_32_10E0_ZNS1_27distribution_nullary_kernelIS7_f15HIP_vector_typeIfLj4EES9_SO_SH_EEvSJ_SL_RKT3_T4_EUlifE0_EEvlNS_15PhiloxCudaStateESK_SL_.kd
    .uniform_work_group_size: 1
    .uses_dynamic_stack: false
    .vgpr_count:     46
    .vgpr_spill_count: 0
    .wavefront_size: 64
amdhsa.target:   amdgcn-amd-amdhsa--gfx90a
amdhsa.version:
  - 1
  - 2
...

	.end_amdgpu_metadata
